;; amdgpu-corpus repo=ANL-CESAR/RSBench kind=compiled arch=gfx90a opt=O3
	.text
	.amdgcn_target "amdgcn-amd-amdhsa--gfx90a"
	.amdhsa_code_object_version 6
	.protected	_Z25xs_lookup_kernel_baseline5Input14SimulationData ; -- Begin function _Z25xs_lookup_kernel_baseline5Input14SimulationData
	.globl	_Z25xs_lookup_kernel_baseline5Input14SimulationData
	.p2align	8
	.type	_Z25xs_lookup_kernel_baseline5Input14SimulationData,@function
_Z25xs_lookup_kernel_baseline5Input14SimulationData: ; @_Z25xs_lookup_kernel_baseline5Input14SimulationData
; %bb.0:
	s_load_dword s6, s[4:5], 0xfc
	s_load_dword s7, s[4:5], 0x8
	s_add_u32 s0, s0, s9
	s_addc_u32 s1, s1, 0
	s_waitcnt lgkmcnt(0)
	s_and_b32 s6, s6, 0xffff
	s_mul_i32 s8, s8, s6
	v_add_u32_e32 v0, s8, v0
	v_cmp_gt_i32_e32 vcc, s7, v0
	s_and_saveexec_b64 s[6:7], vcc
	s_cbranch_execz .LBB0_124
; %bb.1:
	s_load_dwordx2 s[6:7], s[4:5], 0x18
	s_load_dwordx2 s[34:35], s[4:5], 0xe0
                                        ; implicit-def: $vgpr127 : SGPR spill to VGPR lane
	v_mov_b32_e32 v2, v0
                                        ; kill: killed $sgpr4_sgpr5
	s_waitcnt lgkmcnt(0)
	v_writelane_b32 v127, s6, 0
	v_writelane_b32 v127, s7, 1
	s_load_dwordx2 s[6:7], s[4:5], 0x40
	s_waitcnt lgkmcnt(0)
	v_writelane_b32 v127, s6, 2
	v_writelane_b32 v127, s7, 3
	s_load_dwordx2 s[30:31], s[4:5], 0x50
	s_load_dwordx2 s[6:7], s[4:5], 0x60
	s_waitcnt lgkmcnt(0)
	v_writelane_b32 v127, s6, 4
	v_writelane_b32 v127, s7, 5
	s_load_dwordx2 s[6:7], s[4:5], 0x70
	s_waitcnt lgkmcnt(0)
	v_writelane_b32 v127, s6, 6
	v_writelane_b32 v127, s7, 7
	s_load_dwordx2 s[6:7], s[4:5], 0x80
	s_load_dwordx2 s[8:9], s[4:5], 0x90
	buffer_store_dword v2, off, s[0:3], 0 offset:244 ; 4-byte Folded Spill
	s_nop 0
	buffer_store_dword v3, off, s[0:3], 0 offset:248 ; 4-byte Folded Spill
	v_lshlrev_b32_e32 v2, 1, v0
	v_ashrrev_i32_e32 v0, 31, v2
	v_and_b32_e32 v3, 0x7fffffff, v0
	s_waitcnt lgkmcnt(0)
	v_writelane_b32 v127, s8, 8
	v_writelane_b32 v127, s9, 9
	s_load_dwordx2 s[8:9], s[4:5], 0xa0
	v_cmp_ne_u64_e32 vcc, 0, v[2:3]
	s_waitcnt lgkmcnt(0)
	v_writelane_b32 v127, s8, 10
	v_writelane_b32 v127, s9, 11
	s_load_dwordx4 s[8:11], s[4:5], 0xb0
	s_mov_b32 s4, 0x4a2bcaa7
	s_mov_b32 s5, 0xc5df23cb
	v_pk_mov_b32 v[0:1], s[4:5], s[4:5] op_sel:[0,1]
	s_waitcnt lgkmcnt(0)
	v_writelane_b32 v127, s8, 12
	v_writelane_b32 v127, s9, 13
	v_writelane_b32 v127, s10, 14
	v_writelane_b32 v127, s11, 15
	s_mov_b64 s[8:9], 0
	s_and_saveexec_b64 s[4:5], vcc
	s_cbranch_execz .LBB0_7
; %bb.2:
	v_mov_b32_e32 v0, 1
	s_mov_b64 s[10:11], 1
	s_mov_b32 s15, 0x26f19d38
	s_mov_b32 s14, 0xe48e2825
	v_pk_mov_b32 v[4:5], 0, 0
	v_mov_b32_e32 v1, 0
	s_branch .LBB0_4
.LBB0_3:                                ;   in Loop: Header=BB0_4 Depth=1
	s_or_b64 exec, exec, s[12:13]
	s_add_u32 s12, s14, 1
	s_addc_u32 s13, s15, 0
	s_mul_i32 s11, s12, s11
	s_mul_hi_u32 s16, s12, s10
	s_add_i32 s11, s16, s11
	s_mul_i32 s13, s13, s10
	s_add_i32 s11, s11, s13
	s_mul_i32 s10, s12, s10
	s_mul_i32 s12, s14, s15
	s_mul_hi_u32 s13, s14, s14
	s_add_i32 s13, s13, s12
	s_add_i32 s15, s13, s12
	v_lshrrev_b64 v[6:7], 1, v[2:3]
	v_cmp_gt_u64_e32 vcc, 2, v[2:3]
	s_mul_i32 s14, s14, s14
	s_or_b64 s[8:9], vcc, s[8:9]
	v_pk_mov_b32 v[2:3], v[6:7], v[6:7] op_sel:[0,1]
	s_andn2_b64 exec, exec, s[8:9]
	s_cbranch_execz .LBB0_6
.LBB0_4:                                ; =>This Inner Loop Header: Depth=1
	v_and_b32_e32 v6, 1, v2
	v_cmp_eq_u32_e32 vcc, 1, v6
	s_and_saveexec_b64 s[12:13], vcc
	s_cbranch_execz .LBB0_3
; %bb.5:                                ;   in Loop: Header=BB0_4 Depth=1
	v_mul_lo_u32 v6, s15, v0
	v_mul_lo_u32 v7, s14, v1
	v_mad_u64_u32 v[0:1], s[16:17], s14, v0, 0
	v_add3_u32 v1, v1, v7, v6
	v_pk_mov_b32 v[6:7], s[10:11], s[10:11] op_sel:[0,1]
	v_mad_u64_u32 v[6:7], s[16:17], s14, v4, v[6:7]
	v_mul_lo_u32 v5, s14, v5
	v_mul_lo_u32 v4, s15, v4
	v_add3_u32 v7, v4, v7, v5
	v_pk_mov_b32 v[4:5], v[6:7], v[6:7] op_sel:[0,1]
	s_branch .LBB0_3
.LBB0_6:
	s_or_b64 exec, exec, s[8:9]
	s_movk_i32 s10, 0x42e
	v_mad_u64_u32 v[2:3], s[8:9], v0, s10, v[4:5]
	v_mov_b32_e32 v0, v3
	v_mad_u64_u32 v[0:1], s[8:9], v1, s10, v[0:1]
	s_mov_b32 s8, 0x26f19d38
	v_mul_lo_u32 v3, v2, s8
	s_mov_b32 s8, 0xe48e2825
	v_mul_lo_u32 v4, v0, s8
	v_mad_u64_u32 v[0:1], s[8:9], v2, s8, 1
	v_add3_u32 v1, v4, v1, v3
.LBB0_7:
	s_or_b64 exec, exec, s[4:5]
	s_mov_b32 s8, 0xe48e2825
	v_mad_u64_u32 v[2:3], s[4:5], v0, s8, 1
	s_mov_b32 s4, 0x26f19d38
	v_mul_lo_u32 v4, v0, s4
	v_mul_lo_u32 v5, v1, s8
	v_add3_u32 v3, v5, v3, v4
	v_and_b32_e32 v3, 0x7fffffff, v3
	v_cvt_f64_u32_e32 v[4:5], v3
	v_ldexp_f64 v[4:5], v[4:5], 32
	v_cvt_f64_u32_e32 v[2:3], v2
	v_add_f64 v[2:3], v[4:5], v[2:3]
	s_movk_i32 s4, 0xffc1
	v_ldexp_f64 v[2:3], v[2:3], s4
	s_mov_b32 s4, 0x76c8b439
	s_mov_b32 s5, 0x3faa9fbe
	v_cmp_ngt_f64_e32 vcc, s[4:5], v[2:3]
	v_mov_b32_e32 v4, 1
	s_and_saveexec_b64 s[4:5], vcc
	s_cbranch_execz .LBB0_29
; %bb.8:
	s_mov_b32 s8, 0x6872b021
	s_mov_b32 s9, 0x3fd4ed91
	v_cmp_ngt_f64_e32 vcc, s[8:9], v[2:3]
	v_mov_b32_e32 v4, 2
	s_and_saveexec_b64 s[8:9], vcc
	s_cbranch_execz .LBB0_28
; %bb.9:
	;; [unrolled: 7-line block ×10, first 2 shown]
	s_mov_b32 s26, 0xdf3b645b
	s_mov_b32 s27, 0x3feb8d4f
	v_cmp_ngt_f64_e32 vcc, s[26:27], v[2:3]
	v_mov_b32_e32 v4, 11
	s_and_saveexec_b64 s[26:27], vcc
; %bb.18:
	v_mov_b32_e32 v4, 0
; %bb.19:
	s_or_b64 exec, exec, s[26:27]
.LBB0_20:
	s_or_b64 exec, exec, s[24:25]
.LBB0_21:
	s_or_b64 exec, exec, s[22:23]
.LBB0_22:
	s_or_b64 exec, exec, s[20:21]
.LBB0_23:
	s_or_b64 exec, exec, s[18:19]
.LBB0_24:
	s_or_b64 exec, exec, s[16:17]
.LBB0_25:
	s_or_b64 exec, exec, s[14:15]
.LBB0_26:
	s_or_b64 exec, exec, s[12:13]
.LBB0_27:
	s_or_b64 exec, exec, s[10:11]
.LBB0_28:
	s_or_b64 exec, exec, s[8:9]
.LBB0_29:
	s_or_b64 exec, exec, s[4:5]
	v_lshlrev_b32_e32 v2, 2, v4
	global_load_dword v57, v2, s[6:7]
	v_pk_mov_b32 v[68:69], 0, 0
	s_mov_b32 s33, 0
	s_mov_b64 s[44:45], 0
	v_pk_mov_b32 v[78:79], v[68:69], v[68:69] op_sel:[0,1]
	v_pk_mov_b32 v[84:85], v[68:69], v[68:69] op_sel:[0,1]
	;; [unrolled: 1-line block ×3, first 2 shown]
	s_waitcnt vmcnt(0)
	v_cmp_lt_i32_e32 vcc, 0, v57
	s_mov_b64 s[4:5], exec
	v_writelane_b32 v127, s4, 16
	v_writelane_b32 v127, s5, 17
	s_and_b64 s[4:5], s[4:5], vcc
	s_mov_b64 exec, s[4:5]
	s_cbranch_execz .LBB0_123
; %bb.30:
	v_and_b32_e32 v1, 0x7fffffff, v1
	v_cvt_f64_u32_e32 v[2:3], v1
	v_ldexp_f64 v[2:3], v[2:3], 32
	v_cvt_f64_u32_e32 v[0:1], v0
	v_add_f64 v[0:1], v[2:3], v[0:1]
	s_movk_i32 s4, 0xffc1
	s_mov_b32 s46, 0
	v_ldexp_f64 v[18:19], v[0:1], s4
	s_brev_b32 s47, 8
	v_writelane_b32 v127, s34, 18
	v_cmp_gt_f64_e32 vcc, s[46:47], v[18:19]
	v_writelane_b32 v127, s35, 19
	v_cndmask_b32_e64 v0, 0, 1, vcc
	v_lshlrev_b32_e32 v0, 8, v0
	v_readlane_b32 s4, v127, 12
	v_ldexp_f64 v[0:1], v[18:19], v0
	v_readlane_b32 s5, v127, 13
	v_rsq_f64_e32 v[2:3], v[0:1]
	v_mul_lo_u32 v72, v4, s4
	v_readlane_b32 s4, v127, 0
	v_readlane_b32 s5, v127, 1
	s_cmp_lg_u32 s5, 1
	s_cselect_b64 s[4:5], -1, 0
	v_readlane_b32 s6, v127, 14
	v_readlane_b32 s7, v127, 15
	v_writelane_b32 v127, s4, 20
	v_mul_f64 v[4:5], v[0:1], v[2:3]
	v_mul_f64 v[2:3], v[2:3], 0.5
	v_writelane_b32 v127, s5, 21
	v_fma_f64 v[6:7], -v[2:3], v[4:5], 0.5
	v_fmac_f64_e32 v[4:5], v[4:5], v[6:7]
	v_readlane_b32 s4, v127, 8
	v_fma_f64 v[8:9], -v[4:5], v[4:5], v[0:1]
	v_fmac_f64_e32 v[2:3], v[2:3], v[6:7]
	v_readlane_b32 s5, v127, 9
	v_fmac_f64_e32 v[4:5], v[8:9], v[2:3]
	v_mov_b32_e32 v73, s5
	v_readlane_b32 s4, v127, 2
	v_fma_f64 v[6:7], -v[4:5], v[4:5], v[0:1]
	v_mov_b32_e32 v126, 0xffffff80
	v_readlane_b32 s5, v127, 3
	v_fmac_f64_e32 v[4:5], v[6:7], v[2:3]
	v_cndmask_b32_e32 v2, 0, v126, vcc
	v_mov_b32_e32 v52, 0x260
	v_mov_b32_e32 v74, s5
	v_readlane_b32 s4, v127, 6
	v_ldexp_f64 v[2:3], v[4:5], v2
	v_cmp_class_f64_e32 vcc, v[0:1], v52
	v_readlane_b32 s5, v127, 7
	s_mov_b32 s50, 0
	s_mov_b32 s52, 0
	s_mov_b32 s54, 0
	s_mov_b32 s56, 0x54442d18
	s_mov_b32 s58, 0x33145c07
	s_mov_b32 s60, 0x6dc9c883
	s_mov_b32 s64, 0x33145c00
	s_mov_b32 s66, 0x252049c0
	s_mov_b32 s68, 0x9037ab78
	s_mov_b32 s70, 0x46cc5e42
	s_mov_b32 s72, 0xa17f65f6
	s_mov_b32 s74, 0x19f4ec90
	s_mov_b32 s76, 0x16c16967
	s_mov_b32 s80, 0x55555555
	s_mov_b32 s82, 0xb42fdfa7
	s_mov_b32 s84, 0xf9a43bb8
	s_mov_b32 s86, 0x796cde01
	s_mov_b32 s88, 0x19e83e5c
	s_mov_b32 s90, 0x11110bb3
	s_mov_b32 s24, 0
	s_mov_b32 s42, 0
	s_mov_b32 s26, 0x7cdfff0d
	s_mov_b32 s28, 0xa049097
	s_mov_b32 s36, 0x3629c600
	s_mov_b32 s38, 0
	s_mov_b32 s12, 0
	s_mov_b32 s14, 0
	s_mov_b32 s34, 0x3a29c77a
	v_pk_mov_b32 v[68:69], 0, 0
	s_brev_b32 s99, -2
	s_movk_i32 s94, 0xff80
	v_cndmask_b32_e32 v21, v3, v1, vcc
	v_cndmask_b32_e32 v20, v2, v0, vcc
	v_mul_f64 v[22:23], v[18:19], v[18:19]
	v_mov_b32_e32 v75, s5
	s_mov_b32 s51, 0x41d00000
	s_mov_b32 s53, 0x7b000000
	;; [unrolled: 1-line block ×21, first 2 shown]
	s_movk_i32 s95, 0x1f8
	s_movk_i32 s98, 0x48
	s_brev_b32 s25, 1
	v_mov_b32_e32 v53, 0
	s_mov_b32 s43, 0x40180000
	v_mov_b32_e32 v54, 0x40100000
	v_mov_b32_e32 v55, 0x3ff00000
	;; [unrolled: 1-line block ×26, first 2 shown]
	s_mov_b32 s27, 0x3fe065c7
	v_mov_b32_e32 v58, 0x19378e4f
	s_mov_b32 s29, 0xc005cc47
	v_mov_b32_e32 v60, 0x17e1913c
	;; [unrolled: 2-line block ×7, first 2 shown]
	v_mov_b32_e32 v27, 0xbe927e4f
	v_mov_b32_e32 v29, 0x3efa01a0
	;; [unrolled: 1-line block ×30, first 2 shown]
	v_pk_mov_b32 v[78:79], v[68:69], v[68:69] op_sel:[0,1]
	v_pk_mov_b32 v[84:85], v[68:69], v[68:69] op_sel:[0,1]
	;; [unrolled: 1-line block ×3, first 2 shown]
	buffer_store_dword v0, off, s[0:3], 0 offset:64 ; 4-byte Folded Spill
	s_nop 0
	buffer_store_dword v1, off, s[0:3], 0 offset:68 ; 4-byte Folded Spill
	buffer_store_dword v2, off, s[0:3], 0 offset:72 ; 4-byte Folded Spill
	s_nop 0
	buffer_store_dword v3, off, s[0:3], 0 offset:76 ; 4-byte Folded Spill
	;; [unrolled: 3-line block ×19, first 2 shown]
	buffer_store_dword v57, off, s[0:3], 0 offset:224 ; 4-byte Folded Spill
	buffer_store_dword v72, off, s[0:3], 0 offset:228 ; 4-byte Folded Spill
	;; [unrolled: 1-line block ×5, first 2 shown]
	s_branch .LBB0_34
.LBB0_31:                               ;   in Loop: Header=BB0_34 Depth=1
	s_or_b64 exec, exec, s[96:97]
	buffer_load_dword v57, off, s[0:3], 0 offset:224 ; 4-byte Folded Reload
	buffer_load_dword v72, off, s[0:3], 0 offset:228 ; 4-byte Folded Reload
	;; [unrolled: 1-line block ×7, first 2 shown]
	v_mov_b32_e32 v76, 0xfff80000
.LBB0_32:                               ;   in Loop: Header=BB0_34 Depth=1
	s_or_b64 exec, exec, s[40:41]
	v_add_f64 v[2:3], v[94:95], -v[96:97]
.LBB0_33:                               ;   in Loop: Header=BB0_34 Depth=1
	v_readlane_b32 s4, v127, 10
	s_waitcnt vmcnt(0)
	v_lshlrev_b64 v[4:5], 3, v[80:81]
	v_readlane_b32 s5, v127, 11
	v_mov_b32_e32 v6, s5
	v_add_co_u32_e32 v4, vcc, s4, v4
	v_addc_co_u32_e32 v5, vcc, v6, v5, vcc
	global_load_dwordx2 v[4:5], v[4:5], off
	s_add_i32 s33, s33, 1
	v_cmp_eq_u32_e32 vcc, s33, v57
	s_or_b64 s[44:45], vcc, s[44:45]
	s_waitcnt vmcnt(0)
	v_fmac_f64_e32 v[88:89], v[94:95], v[4:5]
	v_fmac_f64_e32 v[84:85], v[96:97], v[4:5]
	;; [unrolled: 1-line block ×4, first 2 shown]
	s_andn2_b64 exec, exec, s[44:45]
	s_cbranch_execz .LBB0_122
.LBB0_34:                               ; =>This Loop Header: Depth=1
                                        ;     Child Loop BB0_108 Depth 2
                                        ;       Child Loop BB0_120 Depth 3
                                        ;     Child Loop BB0_69 Depth 2
	v_add_u32_e32 v80, s33, v72
	v_ashrrev_i32_e32 v81, 31, v80
	v_lshlrev_b64 v[0:1], 2, v[80:81]
	v_readlane_b32 s4, v127, 8
	v_add_co_u32_e32 v0, vcc, s4, v0
	v_addc_co_u32_e32 v1, vcc, v73, v1, vcc
	global_load_dword v8, v[0:1], off
	v_readlane_b32 s5, v127, 9
	v_readlane_b32 s4, v127, 2
	;; [unrolled: 1-line block ×5, first 2 shown]
	s_waitcnt vmcnt(0)
	v_ashrrev_i32_e32 v9, 31, v8
	v_lshlrev_b64 v[0:1], 2, v[8:9]
	v_add_co_u32_e32 v0, vcc, s4, v0
	v_addc_co_u32_e32 v1, vcc, v74, v1, vcc
	global_load_dword v9, v[0:1], off
	s_waitcnt vmcnt(0)
	v_cvt_f64_i32_e32 v[0:1], v9
	v_div_scale_f64 v[2:3], s[4:5], v[0:1], v[0:1], 1.0
	v_rcp_f64_e32 v[4:5], v[2:3]
	v_fma_f64 v[6:7], -v[2:3], v[4:5], 1.0
	v_fmac_f64_e32 v[4:5], v[4:5], v[6:7]
	v_fma_f64 v[6:7], -v[2:3], v[4:5], 1.0
	v_fmac_f64_e32 v[4:5], v[4:5], v[6:7]
	v_div_scale_f64 v[6:7], vcc, 1.0, v[0:1], 1.0
	v_mul_f64 v[10:11], v[6:7], v[4:5]
	v_fma_f64 v[2:3], -v[2:3], v[10:11], v[6:7]
	s_nop 1
	v_div_fmas_f64 v[2:3], v[2:3], v[4:5], v[10:11]
	v_div_fixup_f64 v[0:1], v[2:3], v[0:1], 1.0
	v_div_scale_f64 v[2:3], s[4:5], v[0:1], v[0:1], v[18:19]
	v_rcp_f64_e32 v[4:5], v[2:3]
	v_fma_f64 v[6:7], -v[2:3], v[4:5], 1.0
	v_fmac_f64_e32 v[4:5], v[4:5], v[6:7]
	v_fma_f64 v[6:7], -v[2:3], v[4:5], 1.0
	v_fmac_f64_e32 v[4:5], v[4:5], v[6:7]
	v_div_scale_f64 v[6:7], vcc, v[18:19], v[0:1], v[18:19]
	v_mul_f64 v[10:11], v[6:7], v[4:5]
	v_fma_f64 v[2:3], -v[2:3], v[10:11], v[6:7]
	s_nop 1
	v_div_fmas_f64 v[2:3], v[2:3], v[4:5], v[10:11]
	v_div_fixup_f64 v[0:1], v[2:3], v[0:1], v[18:19]
	v_cvt_i32_f64_e32 v10, v[0:1]
	v_mul_lo_u32 v0, v8, s6
	v_ashrrev_i32_e32 v1, 31, v0
	v_readlane_b32 s6, v127, 6
	v_lshlrev_b64 v[0:1], 3, v[0:1]
	v_readlane_b32 s7, v127, 7
	v_add_co_u32_e32 v12, vcc, s6, v0
	v_readlane_b32 s6, v127, 20
	v_addc_co_u32_e32 v13, vcc, v75, v1, vcc
	v_readlane_b32 s7, v127, 21
	v_cmp_eq_u32_e64 s[4:5], v9, v10
	s_and_b64 vcc, exec, s[6:7]
	s_cbranch_vccz .LBB0_72
; %bb.35:                               ;   in Loop: Header=BB0_34 Depth=1
	global_load_dwordx2 v[0:1], v[12:13], off
                                        ; implicit-def: $vgpr11
                                        ; implicit-def: $vgpr16_vgpr17
                                        ; implicit-def: $vgpr42_vgpr43
	s_waitcnt vmcnt(0)
	v_mul_f64 v[0:1], v[20:21], v[0:1]
	v_add_f64 v[0:1], v[0:1], v[0:1]
	v_cmp_nlt_f64_e64 s[8:9], |v[0:1]|, s[50:51]
	v_trig_preop_f64 v[6:7], |v[0:1]|, 0
	v_trig_preop_f64 v[4:5], |v[0:1]|, 1
	v_ldexp_f64 v[14:15], |v[0:1]|, s94
	v_trig_preop_f64 v[2:3], |v[0:1]|, 2
	v_and_b32_e32 v9, 0x7fffffff, v1
	s_and_saveexec_b64 s[6:7], s[8:9]
	s_xor_b64 s[10:11], exec, s[6:7]
	s_cbranch_execz .LBB0_37
; %bb.36:                               ;   in Loop: Header=BB0_34 Depth=1
	v_cmp_ge_f64_e64 vcc, |v[0:1]|, s[52:53]
	v_cndmask_b32_e32 v17, v9, v15, vcc
	v_cndmask_b32_e32 v16, v0, v14, vcc
	v_mul_f64 v[44:45], v[6:7], v[16:17]
	v_mul_f64 v[42:43], v[4:5], v[16:17]
	v_fma_f64 v[46:47], v[6:7], v[16:17], -v[44:45]
	v_add_f64 v[48:49], v[42:43], v[46:47]
	v_add_f64 v[50:51], v[44:45], v[48:49]
	v_ldexp_f64 v[58:59], v[50:51], -2
	v_fract_f64_e32 v[60:61], v[58:59]
	v_cmp_neq_f64_e64 vcc, |v[58:59]|, s[54:55]
	v_cndmask_b32_e32 v59, 0, v61, vcc
	v_cndmask_b32_e32 v58, 0, v60, vcc
	v_add_f64 v[60:61], v[48:49], -v[42:43]
	v_add_f64 v[46:47], v[46:47], -v[60:61]
	;; [unrolled: 1-line block ×4, first 2 shown]
	v_add_f64 v[46:47], v[46:47], v[60:61]
	v_fma_f64 v[42:43], v[4:5], v[16:17], -v[42:43]
	v_mul_f64 v[60:61], v[2:3], v[16:17]
	v_add_f64 v[62:63], v[60:61], v[42:43]
	v_add_f64 v[64:65], v[62:63], v[46:47]
	v_add_f64 v[44:45], v[50:51], -v[44:45]
	v_add_f64 v[50:51], v[64:65], -v[62:63]
	;; [unrolled: 1-line block ×5, first 2 shown]
	v_add_f64 v[46:47], v[46:47], v[50:51]
	v_add_f64 v[50:51], v[62:63], -v[60:61]
	v_add_f64 v[42:43], v[42:43], -v[50:51]
	;; [unrolled: 1-line block ×5, first 2 shown]
	v_add_f64 v[48:49], v[44:45], v[64:65]
	v_add_f64 v[42:43], v[42:43], v[50:51]
	v_add_f64 v[44:45], v[48:49], -v[44:45]
	v_add_f64 v[42:43], v[42:43], v[46:47]
	v_fma_f64 v[16:17], v[2:3], v[16:17], -v[60:61]
	v_add_f64 v[44:45], v[64:65], -v[44:45]
	v_add_f64 v[16:17], v[16:17], v[42:43]
	v_ldexp_f64 v[42:43], v[58:59], 2
	v_add_f64 v[16:17], v[44:45], v[16:17]
	v_add_f64 v[44:45], v[48:49], v[42:43]
	v_cmp_gt_f64_e32 vcc, 0, v[44:45]
	v_cndmask_b32_e32 v91, 0, v54, vcc
	v_add_f64 v[42:43], v[42:43], v[90:91]
	v_add_f64 v[44:45], v[48:49], v[42:43]
	v_cvt_i32_f64_e32 v11, v[44:45]
	v_cvt_f64_i32_e32 v[44:45], v11
	v_add_f64 v[42:43], v[42:43], -v[44:45]
	v_add_f64 v[44:45], v[48:49], v[42:43]
	v_add_f64 v[42:43], v[44:45], -v[42:43]
	v_cmp_le_f64_e32 vcc, 0.5, v[44:45]
	v_add_f64 v[42:43], v[48:49], -v[42:43]
	v_cndmask_b32_e32 v91, 0, v55, vcc
	v_add_f64 v[16:17], v[16:17], v[42:43]
	v_add_f64 v[42:43], v[44:45], -v[90:91]
	v_add_f64 v[44:45], v[42:43], v[16:17]
	v_add_f64 v[42:43], v[44:45], -v[42:43]
	v_add_f64 v[16:17], v[16:17], -v[42:43]
	v_mul_f64 v[42:43], v[44:45], s[56:57]
	v_fma_f64 v[46:47], v[44:45], s[56:57], -v[42:43]
	v_fmac_f64_e32 v[46:47], s[58:59], v[44:45]
	v_fmac_f64_e32 v[46:47], s[56:57], v[16:17]
	v_add_f64 v[16:17], v[42:43], v[46:47]
	v_add_f64 v[42:43], v[16:17], -v[42:43]
	v_addc_co_u32_e64 v11, s[6:7], 0, v11, vcc
	v_add_f64 v[42:43], v[46:47], -v[42:43]
.LBB0_37:                               ;   in Loop: Header=BB0_34 Depth=1
	s_andn2_saveexec_b64 s[6:7], s[10:11]
	s_cbranch_execz .LBB0_39
; %bb.38:                               ;   in Loop: Header=BB0_34 Depth=1
	v_mul_f64 v[16:17], |v[0:1]|, s[60:61]
	v_rndne_f64_e32 v[44:45], v[16:17]
	s_mov_b32 s62, s56
	v_fma_f64 v[16:17], v[44:45], s[62:63], |v[0:1]|
	v_mul_f64 v[46:47], v[44:45], s[64:65]
	v_add_f64 v[50:51], v[16:17], v[46:47]
	v_fma_f64 v[42:43], s[64:65], v[44:45], v[16:17]
	s_mov_b32 s10, s64
	s_mov_b32 s11, s59
	v_add_f64 v[16:17], v[16:17], -v[50:51]
	v_fma_f64 v[48:49], s[10:11], v[44:45], v[46:47]
	v_add_f64 v[16:17], v[16:17], v[46:47]
	v_add_f64 v[46:47], v[50:51], -v[42:43]
	v_add_f64 v[16:17], v[46:47], v[16:17]
	v_add_f64 v[46:47], v[16:17], -v[48:49]
	v_fmac_f64_e32 v[46:47], s[66:67], v[44:45]
	v_add_f64 v[16:17], v[42:43], v[46:47]
	v_add_f64 v[42:43], v[16:17], -v[42:43]
	v_add_f64 v[42:43], v[46:47], -v[42:43]
	v_cvt_i32_f64_e32 v11, v[44:45]
.LBB0_39:                               ;   in Loop: Header=BB0_34 Depth=1
	s_or_b64 exec, exec, s[6:7]
	v_mul_f64 v[44:45], v[16:17], v[16:17]
	v_pk_mov_b32 v[58:59], v[24:25], v[24:25] op_sel:[0,1]
	v_mul_f64 v[46:47], v[44:45], 0.5
	v_fmac_f64_e32 v[58:59], s[70:71], v[44:45]
	v_pk_mov_b32 v[60:61], v[26:27], v[26:27] op_sel:[0,1]
	v_add_f64 v[48:49], -v[46:47], 1.0
	v_fmac_f64_e32 v[60:61], v[44:45], v[58:59]
	v_pk_mov_b32 v[58:59], v[28:29], v[28:29] op_sel:[0,1]
	v_add_f64 v[50:51], -v[48:49], 1.0
	v_fmac_f64_e32 v[58:59], v[44:45], v[60:61]
	v_pk_mov_b32 v[60:61], v[30:31], v[30:31] op_sel:[0,1]
	v_add_f64 v[46:47], v[50:51], -v[46:47]
	v_fmac_f64_e32 v[60:61], v[44:45], v[58:59]
	v_pk_mov_b32 v[58:59], v[32:33], v[32:33] op_sel:[0,1]
	v_mul_f64 v[50:51], v[44:45], v[44:45]
	v_fmac_f64_e32 v[58:59], v[44:45], v[60:61]
	v_fma_f64 v[46:47], v[16:17], -v[42:43], v[46:47]
	v_fmac_f64_e32 v[46:47], v[50:51], v[58:59]
	v_add_f64 v[46:47], v[48:49], v[46:47]
	v_pk_mov_b32 v[48:49], v[34:35], v[34:35] op_sel:[0,1]
	v_fmac_f64_e32 v[48:49], s[84:85], v[44:45]
	v_pk_mov_b32 v[50:51], v[36:37], v[36:37] op_sel:[0,1]
	v_fmac_f64_e32 v[50:51], v[44:45], v[48:49]
	;; [unrolled: 2-line block ×4, first 2 shown]
	v_mul_f64 v[48:49], v[16:17], -v[44:45]
	v_mul_f64 v[58:59], v[42:43], 0.5
	v_fmac_f64_e32 v[58:59], v[48:49], v[50:51]
	v_fma_f64 v[42:43], v[44:45], v[58:59], -v[42:43]
	v_fmac_f64_e32 v[42:43], s[80:81], v[48:49]
	v_add_f64 v[16:17], v[16:17], -v[42:43]
	v_and_b32_e32 v42, 1, v11
	v_xor_b32_e32 v17, 0x80000000, v17
	v_cmp_eq_u32_e32 vcc, 0, v42
	v_lshlrev_b32_e32 v11, 30, v11
	v_cndmask_b32_e32 v17, v17, v47, vcc
	v_and_b32_e32 v11, 0x80000000, v11
	v_cndmask_b32_e32 v16, v16, v46, vcc
	v_xor_b32_e32 v11, v17, v11
	v_cmp_class_f64_e64 vcc, v[0:1], s95
	v_cndmask_b32_e32 v11, v56, v11, vcc
	v_cndmask_b32_e32 v16, 0, v16, vcc
	buffer_store_dword v16, off, s[0:3], 0
	buffer_store_dword v11, off, s[0:3], 0 offset:4
                                        ; implicit-def: $vgpr11
                                        ; implicit-def: $vgpr16_vgpr17
                                        ; implicit-def: $vgpr42_vgpr43
	s_and_saveexec_b64 s[6:7], s[8:9]
	s_xor_b64 s[10:11], exec, s[6:7]
	s_cbranch_execz .LBB0_41
; %bb.40:                               ;   in Loop: Header=BB0_34 Depth=1
	v_cmp_ge_f64_e64 s[6:7], |v[0:1]|, s[52:53]
	v_cndmask_b32_e64 v15, v9, v15, s[6:7]
	v_cndmask_b32_e64 v14, v0, v14, s[6:7]
	v_mul_f64 v[42:43], v[6:7], v[14:15]
	v_mul_f64 v[16:17], v[4:5], v[14:15]
	v_fma_f64 v[6:7], v[6:7], v[14:15], -v[42:43]
	v_add_f64 v[44:45], v[16:17], v[6:7]
	v_add_f64 v[46:47], v[42:43], v[44:45]
	v_ldexp_f64 v[48:49], v[46:47], -2
	v_fract_f64_e32 v[50:51], v[48:49]
	v_cmp_neq_f64_e64 s[6:7], |v[48:49]|, s[54:55]
	v_cndmask_b32_e64 v49, 0, v51, s[6:7]
	v_cndmask_b32_e64 v48, 0, v50, s[6:7]
	v_add_f64 v[50:51], v[44:45], -v[16:17]
	v_add_f64 v[6:7], v[6:7], -v[50:51]
	;; [unrolled: 1-line block ×4, first 2 shown]
	v_fma_f64 v[4:5], v[4:5], v[14:15], -v[16:17]
	v_mul_f64 v[16:17], v[2:3], v[14:15]
	v_add_f64 v[6:7], v[6:7], v[50:51]
	v_add_f64 v[50:51], v[16:17], v[4:5]
	;; [unrolled: 1-line block ×3, first 2 shown]
	v_add_f64 v[42:43], v[46:47], -v[42:43]
	v_add_f64 v[46:47], v[58:59], -v[50:51]
	;; [unrolled: 1-line block ×5, first 2 shown]
	v_add_f64 v[6:7], v[6:7], v[46:47]
	v_add_f64 v[46:47], v[50:51], -v[16:17]
	v_add_f64 v[4:5], v[4:5], -v[46:47]
	;; [unrolled: 1-line block ×4, first 2 shown]
	v_add_f64 v[4:5], v[4:5], v[46:47]
	v_add_f64 v[42:43], v[44:45], -v[42:43]
	v_add_f64 v[4:5], v[4:5], v[6:7]
	v_fma_f64 v[2:3], v[2:3], v[14:15], -v[16:17]
	v_add_f64 v[44:45], v[42:43], v[58:59]
	v_add_f64 v[2:3], v[2:3], v[4:5]
	v_ldexp_f64 v[4:5], v[48:49], 2
	v_add_f64 v[6:7], v[44:45], v[4:5]
	v_cmp_gt_f64_e64 s[6:7], 0, v[6:7]
	v_cndmask_b32_e64 v91, 0, v54, s[6:7]
	v_add_f64 v[4:5], v[4:5], v[90:91]
	v_add_f64 v[6:7], v[44:45], v[4:5]
	v_cvt_i32_f64_e32 v9, v[6:7]
	v_cvt_f64_i32_e32 v[6:7], v9
	v_add_f64 v[4:5], v[4:5], -v[6:7]
	v_add_f64 v[42:43], v[44:45], -v[42:43]
	v_add_f64 v[6:7], v[44:45], v[4:5]
	v_add_f64 v[42:43], v[58:59], -v[42:43]
	v_add_f64 v[4:5], v[6:7], -v[4:5]
	v_cmp_le_f64_e64 s[6:7], 0.5, v[6:7]
	v_add_f64 v[2:3], v[42:43], v[2:3]
	v_add_f64 v[4:5], v[44:45], -v[4:5]
	v_cndmask_b32_e64 v91, 0, v55, s[6:7]
	v_add_f64 v[2:3], v[2:3], v[4:5]
	v_add_f64 v[4:5], v[6:7], -v[90:91]
	v_add_f64 v[6:7], v[4:5], v[2:3]
	v_add_f64 v[4:5], v[6:7], -v[4:5]
	v_add_f64 v[2:3], v[2:3], -v[4:5]
	v_mul_f64 v[4:5], v[6:7], s[56:57]
	v_fma_f64 v[14:15], v[6:7], s[56:57], -v[4:5]
	v_fmac_f64_e32 v[14:15], s[58:59], v[6:7]
	v_fmac_f64_e32 v[14:15], s[56:57], v[2:3]
	v_add_f64 v[16:17], v[4:5], v[14:15]
	v_add_f64 v[2:3], v[16:17], -v[4:5]
	v_addc_co_u32_e64 v11, s[8:9], 0, v9, s[6:7]
	v_add_f64 v[42:43], v[14:15], -v[2:3]
.LBB0_41:                               ;   in Loop: Header=BB0_34 Depth=1
	s_andn2_saveexec_b64 s[6:7], s[10:11]
	s_cbranch_execz .LBB0_43
; %bb.42:                               ;   in Loop: Header=BB0_34 Depth=1
	v_mul_f64 v[2:3], |v[0:1]|, s[60:61]
	v_rndne_f64_e32 v[2:3], v[2:3]
	s_mov_b32 s62, s56
	v_fma_f64 v[4:5], v[2:3], s[62:63], |v[0:1]|
	v_mul_f64 v[14:15], v[2:3], s[64:65]
	v_add_f64 v[42:43], v[4:5], v[14:15]
	v_fma_f64 v[6:7], s[64:65], v[2:3], v[4:5]
	s_mov_b32 s8, s64
	s_mov_b32 s9, s59
	v_add_f64 v[4:5], v[4:5], -v[42:43]
	v_fma_f64 v[16:17], s[8:9], v[2:3], v[14:15]
	v_add_f64 v[4:5], v[4:5], v[14:15]
	v_add_f64 v[14:15], v[42:43], -v[6:7]
	v_add_f64 v[4:5], v[14:15], v[4:5]
	v_add_f64 v[4:5], v[4:5], -v[16:17]
	v_fmac_f64_e32 v[4:5], s[66:67], v[2:3]
	v_add_f64 v[16:17], v[6:7], v[4:5]
	v_add_f64 v[6:7], v[16:17], -v[6:7]
	v_add_f64 v[42:43], v[4:5], -v[6:7]
	v_cvt_i32_f64_e32 v11, v[2:3]
.LBB0_43:                               ;   in Loop: Header=BB0_34 Depth=1
	s_or_b64 exec, exec, s[6:7]
	v_mul_f64 v[2:3], v[16:17], v[16:17]
	v_pk_mov_b32 v[44:45], v[24:25], v[24:25] op_sel:[0,1]
	v_mul_f64 v[4:5], v[2:3], 0.5
	v_fmac_f64_e32 v[44:45], s[70:71], v[2:3]
	v_pk_mov_b32 v[46:47], v[26:27], v[26:27] op_sel:[0,1]
	v_add_f64 v[6:7], -v[4:5], 1.0
	v_fmac_f64_e32 v[46:47], v[2:3], v[44:45]
	v_pk_mov_b32 v[44:45], v[28:29], v[28:29] op_sel:[0,1]
	v_add_f64 v[14:15], -v[6:7], 1.0
	v_fmac_f64_e32 v[44:45], v[2:3], v[46:47]
	v_pk_mov_b32 v[46:47], v[30:31], v[30:31] op_sel:[0,1]
	v_add_f64 v[4:5], v[14:15], -v[4:5]
	v_fmac_f64_e32 v[46:47], v[2:3], v[44:45]
	v_pk_mov_b32 v[44:45], v[32:33], v[32:33] op_sel:[0,1]
	v_mul_f64 v[14:15], v[2:3], v[2:3]
	v_fmac_f64_e32 v[44:45], v[2:3], v[46:47]
	v_fma_f64 v[4:5], v[16:17], -v[42:43], v[4:5]
	v_fmac_f64_e32 v[4:5], v[14:15], v[44:45]
	v_add_f64 v[4:5], v[6:7], v[4:5]
	v_pk_mov_b32 v[6:7], v[34:35], v[34:35] op_sel:[0,1]
	v_fmac_f64_e32 v[6:7], s[84:85], v[2:3]
	v_pk_mov_b32 v[14:15], v[36:37], v[36:37] op_sel:[0,1]
	v_fmac_f64_e32 v[14:15], v[2:3], v[6:7]
	v_pk_mov_b32 v[6:7], v[38:39], v[38:39] op_sel:[0,1]
	v_fmac_f64_e32 v[6:7], v[2:3], v[14:15]
	v_pk_mov_b32 v[14:15], v[40:41], v[40:41] op_sel:[0,1]
	v_fmac_f64_e32 v[14:15], v[2:3], v[6:7]
	v_mul_f64 v[6:7], v[16:17], -v[2:3]
	v_mul_f64 v[44:45], v[42:43], 0.5
	v_fmac_f64_e32 v[44:45], v[6:7], v[14:15]
	v_fma_f64 v[2:3], v[2:3], v[44:45], -v[42:43]
	v_fmac_f64_e32 v[2:3], s[80:81], v[6:7]
	v_and_b32_e32 v0, 1, v11
	v_add_f64 v[2:3], v[16:17], -v[2:3]
	v_cmp_eq_u32_e64 s[6:7], 0, v0
	v_cndmask_b32_e64 v0, v4, v2, s[6:7]
	v_cndmask_b32_e64 v2, v5, v3, s[6:7]
	v_lshlrev_b32_e32 v3, 30, v11
	v_xor_b32_e32 v1, v3, v1
	v_and_b32_e32 v1, 0x80000000, v1
	v_xor_b32_e32 v1, v2, v1
	v_cndmask_b32_e32 v0, 0, v0, vcc
	v_cndmask_b32_e64 v1, v76, -v1, vcc
	buffer_store_dword v0, off, s[0:3], 0 offset:8
	buffer_store_dword v1, off, s[0:3], 0 offset:12
	global_load_dwordx2 v[0:1], v[12:13], off offset:8
                                        ; implicit-def: $vgpr11
	s_waitcnt vmcnt(0)
	v_mul_f64 v[2:3], v[20:21], v[0:1]
	v_and_b32_e32 v5, 0x7fffffff, v3
	v_mov_b32_e32 v4, v2
	v_div_scale_f64 v[6:7], s[8:9], v[4:5], v[4:5], 1.0
	v_rcp_f64_e32 v[14:15], v[6:7]
	v_cmp_gt_f64_e64 s[6:7], |v[2:3]|, 1.0
	s_mov_b32 s8, 0xb5e68a13
	s_mov_b32 s9, 0x3eeba404
	v_fma_f64 v[16:17], -v[6:7], v[14:15], 1.0
	v_fmac_f64_e32 v[14:15], v[14:15], v[16:17]
	v_fma_f64 v[16:17], -v[6:7], v[14:15], 1.0
	v_fmac_f64_e32 v[14:15], v[14:15], v[16:17]
	v_div_scale_f64 v[16:17], vcc, 1.0, v[4:5], 1.0
	v_mul_f64 v[42:43], v[16:17], v[14:15]
	v_fma_f64 v[6:7], -v[6:7], v[42:43], v[16:17]
	s_nop 1
	v_div_fmas_f64 v[6:7], v[6:7], v[14:15], v[42:43]
	buffer_load_dword v14, off, s[0:3], 0 offset:64 ; 4-byte Folded Reload
	buffer_load_dword v15, off, s[0:3], 0 offset:68 ; 4-byte Folded Reload
	;; [unrolled: 1-line block ×4, first 2 shown]
	v_div_fixup_f64 v[6:7], v[6:7], |v[2:3]|, 1.0
	v_cndmask_b32_e64 v5, v5, v7, s[6:7]
	v_cndmask_b32_e64 v4, v4, v6, s[6:7]
	v_mul_f64 v[6:7], v[4:5], v[4:5]
	s_waitcnt vmcnt(2)
	v_fmac_f64_e32 v[14:15], s[8:9], v[6:7]
	s_waitcnt vmcnt(0)
	v_fmac_f64_e32 v[16:17], v[6:7], v[14:15]
	buffer_load_dword v14, off, s[0:3], 0 offset:80 ; 4-byte Folded Reload
	buffer_load_dword v15, off, s[0:3], 0 offset:84 ; 4-byte Folded Reload
	s_mov_b32 s8, 0x336a0500
	s_mov_b32 s9, 0x3fedd9ad
	s_waitcnt vmcnt(0)
	v_fmac_f64_e32 v[14:15], v[6:7], v[16:17]
	buffer_load_dword v16, off, s[0:3], 0 offset:88 ; 4-byte Folded Reload
	buffer_load_dword v17, off, s[0:3], 0 offset:92 ; 4-byte Folded Reload
	s_waitcnt vmcnt(0)
	v_fmac_f64_e32 v[16:17], v[6:7], v[14:15]
	buffer_load_dword v14, off, s[0:3], 0 offset:96 ; 4-byte Folded Reload
	buffer_load_dword v15, off, s[0:3], 0 offset:100 ; 4-byte Folded Reload
	;; [unrolled: 4-line block ×13, first 2 shown]
	buffer_load_dword v42, off, s[0:3], 0 offset:192 ; 4-byte Folded Reload
	buffer_load_dword v43, off, s[0:3], 0 offset:196 ; 4-byte Folded Reload
	s_waitcnt vmcnt(2)
	v_fmac_f64_e32 v[16:17], v[6:7], v[14:15]
	buffer_load_dword v14, off, s[0:3], 0 offset:200 ; 4-byte Folded Reload
	buffer_load_dword v15, off, s[0:3], 0 offset:204 ; 4-byte Folded Reload
	s_waitcnt vmcnt(2)
	v_fmac_f64_e32 v[42:43], v[6:7], v[16:17]
	v_pk_mov_b32 v[16:17], v[82:83], v[82:83] op_sel:[0,1]
	s_waitcnt vmcnt(0)
	v_fmac_f64_e32 v[14:15], v[6:7], v[42:43]
	v_fmac_f64_e32 v[16:17], v[6:7], v[14:15]
	v_mul_f64 v[6:7], v[6:7], v[16:17]
	v_fmac_f64_e32 v[4:5], v[4:5], v[6:7]
	buffer_load_dword v6, off, s[0:3], 0 offset:208 ; 4-byte Folded Reload
	buffer_load_dword v7, off, s[0:3], 0 offset:212 ; 4-byte Folded Reload
                                        ; implicit-def: $vgpr16_vgpr17
                                        ; implicit-def: $vgpr42_vgpr43
	s_waitcnt vmcnt(0)
	v_fma_f64 v[6:7], s[8:9], v[6:7], -v[4:5]
	v_cndmask_b32_e64 v2, v4, v6, s[6:7]
	v_cndmask_b32_e64 v4, v5, v7, s[6:7]
	v_bfi_b32 v3, s99, v4, v3
	v_fmac_f64_e32 v[2:3], v[20:21], v[0:1]
	v_add_f64 v[0:1], v[2:3], v[2:3]
	v_cmp_nlt_f64_e64 s[8:9], |v[0:1]|, s[50:51]
	v_trig_preop_f64 v[6:7], |v[0:1]|, 0
	v_trig_preop_f64 v[4:5], |v[0:1]|, 1
	v_ldexp_f64 v[14:15], |v[0:1]|, s94
	v_trig_preop_f64 v[2:3], |v[0:1]|, 2
	v_and_b32_e32 v9, 0x7fffffff, v1
	s_and_saveexec_b64 s[6:7], s[8:9]
	s_xor_b64 s[10:11], exec, s[6:7]
	s_cbranch_execz .LBB0_45
; %bb.44:                               ;   in Loop: Header=BB0_34 Depth=1
	v_cmp_ge_f64_e64 vcc, |v[0:1]|, s[52:53]
	v_cndmask_b32_e32 v17, v9, v15, vcc
	v_cndmask_b32_e32 v16, v0, v14, vcc
	v_mul_f64 v[44:45], v[6:7], v[16:17]
	v_mul_f64 v[42:43], v[4:5], v[16:17]
	v_fma_f64 v[46:47], v[6:7], v[16:17], -v[44:45]
	v_add_f64 v[48:49], v[42:43], v[46:47]
	v_add_f64 v[50:51], v[44:45], v[48:49]
	v_ldexp_f64 v[58:59], v[50:51], -2
	v_fract_f64_e32 v[60:61], v[58:59]
	v_cmp_neq_f64_e64 vcc, |v[58:59]|, s[54:55]
	v_cndmask_b32_e32 v59, 0, v61, vcc
	v_cndmask_b32_e32 v58, 0, v60, vcc
	v_add_f64 v[60:61], v[48:49], -v[42:43]
	v_add_f64 v[46:47], v[46:47], -v[60:61]
	;; [unrolled: 1-line block ×4, first 2 shown]
	v_add_f64 v[46:47], v[46:47], v[60:61]
	v_fma_f64 v[42:43], v[4:5], v[16:17], -v[42:43]
	v_mul_f64 v[60:61], v[2:3], v[16:17]
	v_add_f64 v[62:63], v[60:61], v[42:43]
	v_add_f64 v[64:65], v[62:63], v[46:47]
	v_add_f64 v[44:45], v[50:51], -v[44:45]
	v_add_f64 v[50:51], v[64:65], -v[62:63]
	;; [unrolled: 1-line block ×5, first 2 shown]
	v_add_f64 v[46:47], v[46:47], v[50:51]
	v_add_f64 v[50:51], v[62:63], -v[60:61]
	v_add_f64 v[42:43], v[42:43], -v[50:51]
	;; [unrolled: 1-line block ×5, first 2 shown]
	v_add_f64 v[48:49], v[44:45], v[64:65]
	v_add_f64 v[42:43], v[42:43], v[50:51]
	v_add_f64 v[44:45], v[48:49], -v[44:45]
	v_add_f64 v[42:43], v[42:43], v[46:47]
	v_fma_f64 v[16:17], v[2:3], v[16:17], -v[60:61]
	v_add_f64 v[44:45], v[64:65], -v[44:45]
	v_add_f64 v[16:17], v[16:17], v[42:43]
	v_ldexp_f64 v[42:43], v[58:59], 2
	v_add_f64 v[16:17], v[44:45], v[16:17]
	v_add_f64 v[44:45], v[48:49], v[42:43]
	v_cmp_gt_f64_e32 vcc, 0, v[44:45]
	v_cndmask_b32_e32 v91, 0, v54, vcc
	v_add_f64 v[42:43], v[42:43], v[90:91]
	v_add_f64 v[44:45], v[48:49], v[42:43]
	v_cvt_i32_f64_e32 v11, v[44:45]
	v_cvt_f64_i32_e32 v[44:45], v11
	v_add_f64 v[42:43], v[42:43], -v[44:45]
	v_add_f64 v[44:45], v[48:49], v[42:43]
	v_add_f64 v[42:43], v[44:45], -v[42:43]
	v_cmp_le_f64_e32 vcc, 0.5, v[44:45]
	v_add_f64 v[42:43], v[48:49], -v[42:43]
	v_cndmask_b32_e32 v91, 0, v55, vcc
	v_add_f64 v[16:17], v[16:17], v[42:43]
	v_add_f64 v[42:43], v[44:45], -v[90:91]
	v_add_f64 v[44:45], v[42:43], v[16:17]
	v_add_f64 v[42:43], v[44:45], -v[42:43]
	v_add_f64 v[16:17], v[16:17], -v[42:43]
	v_mul_f64 v[42:43], v[44:45], s[56:57]
	v_fma_f64 v[46:47], v[44:45], s[56:57], -v[42:43]
	v_fmac_f64_e32 v[46:47], s[58:59], v[44:45]
	v_fmac_f64_e32 v[46:47], s[56:57], v[16:17]
	v_add_f64 v[16:17], v[42:43], v[46:47]
	v_add_f64 v[42:43], v[16:17], -v[42:43]
	v_addc_co_u32_e64 v11, s[6:7], 0, v11, vcc
	v_add_f64 v[42:43], v[46:47], -v[42:43]
.LBB0_45:                               ;   in Loop: Header=BB0_34 Depth=1
	s_andn2_saveexec_b64 s[6:7], s[10:11]
	s_cbranch_execz .LBB0_47
; %bb.46:                               ;   in Loop: Header=BB0_34 Depth=1
	v_mul_f64 v[16:17], |v[0:1]|, s[60:61]
	v_rndne_f64_e32 v[44:45], v[16:17]
	s_mov_b32 s62, s56
	v_fma_f64 v[16:17], v[44:45], s[62:63], |v[0:1]|
	v_mul_f64 v[46:47], v[44:45], s[64:65]
	v_add_f64 v[50:51], v[16:17], v[46:47]
	v_fma_f64 v[42:43], s[64:65], v[44:45], v[16:17]
	s_mov_b32 s10, s64
	s_mov_b32 s11, s59
	v_add_f64 v[16:17], v[16:17], -v[50:51]
	v_fma_f64 v[48:49], s[10:11], v[44:45], v[46:47]
	v_add_f64 v[16:17], v[16:17], v[46:47]
	v_add_f64 v[46:47], v[50:51], -v[42:43]
	v_add_f64 v[16:17], v[46:47], v[16:17]
	v_add_f64 v[46:47], v[16:17], -v[48:49]
	v_fmac_f64_e32 v[46:47], s[66:67], v[44:45]
	v_add_f64 v[16:17], v[42:43], v[46:47]
	v_add_f64 v[42:43], v[16:17], -v[42:43]
	v_add_f64 v[42:43], v[46:47], -v[42:43]
	v_cvt_i32_f64_e32 v11, v[44:45]
.LBB0_47:                               ;   in Loop: Header=BB0_34 Depth=1
	s_or_b64 exec, exec, s[6:7]
	v_mul_f64 v[44:45], v[16:17], v[16:17]
	v_pk_mov_b32 v[58:59], v[24:25], v[24:25] op_sel:[0,1]
	v_mul_f64 v[46:47], v[44:45], 0.5
	v_fmac_f64_e32 v[58:59], s[70:71], v[44:45]
	v_pk_mov_b32 v[60:61], v[26:27], v[26:27] op_sel:[0,1]
	v_add_f64 v[48:49], -v[46:47], 1.0
	v_fmac_f64_e32 v[60:61], v[44:45], v[58:59]
	v_pk_mov_b32 v[58:59], v[28:29], v[28:29] op_sel:[0,1]
	v_add_f64 v[50:51], -v[48:49], 1.0
	v_fmac_f64_e32 v[58:59], v[44:45], v[60:61]
	v_pk_mov_b32 v[60:61], v[30:31], v[30:31] op_sel:[0,1]
	v_add_f64 v[46:47], v[50:51], -v[46:47]
	v_fmac_f64_e32 v[60:61], v[44:45], v[58:59]
	v_pk_mov_b32 v[58:59], v[32:33], v[32:33] op_sel:[0,1]
	v_mul_f64 v[50:51], v[44:45], v[44:45]
	v_fmac_f64_e32 v[58:59], v[44:45], v[60:61]
	v_fma_f64 v[46:47], v[16:17], -v[42:43], v[46:47]
	v_fmac_f64_e32 v[46:47], v[50:51], v[58:59]
	v_add_f64 v[46:47], v[48:49], v[46:47]
	v_pk_mov_b32 v[48:49], v[34:35], v[34:35] op_sel:[0,1]
	v_fmac_f64_e32 v[48:49], s[84:85], v[44:45]
	v_pk_mov_b32 v[50:51], v[36:37], v[36:37] op_sel:[0,1]
	v_fmac_f64_e32 v[50:51], v[44:45], v[48:49]
	;; [unrolled: 2-line block ×4, first 2 shown]
	v_mul_f64 v[48:49], v[16:17], -v[44:45]
	v_mul_f64 v[58:59], v[42:43], 0.5
	v_fmac_f64_e32 v[58:59], v[48:49], v[50:51]
	v_fma_f64 v[42:43], v[44:45], v[58:59], -v[42:43]
	v_fmac_f64_e32 v[42:43], s[80:81], v[48:49]
	v_add_f64 v[16:17], v[16:17], -v[42:43]
	v_and_b32_e32 v42, 1, v11
	v_xor_b32_e32 v17, 0x80000000, v17
	v_cmp_eq_u32_e32 vcc, 0, v42
	v_lshlrev_b32_e32 v11, 30, v11
	v_cndmask_b32_e32 v17, v17, v47, vcc
	v_and_b32_e32 v11, 0x80000000, v11
	v_cndmask_b32_e32 v16, v16, v46, vcc
	v_xor_b32_e32 v11, v17, v11
	v_cmp_class_f64_e64 vcc, v[0:1], s95
	v_cndmask_b32_e32 v11, v56, v11, vcc
	v_cndmask_b32_e32 v16, 0, v16, vcc
	buffer_store_dword v16, off, s[0:3], 0 offset:16
	buffer_store_dword v11, off, s[0:3], 0 offset:20
                                        ; implicit-def: $vgpr11
                                        ; implicit-def: $vgpr16_vgpr17
                                        ; implicit-def: $vgpr42_vgpr43
	s_and_saveexec_b64 s[6:7], s[8:9]
	s_xor_b64 s[10:11], exec, s[6:7]
	s_cbranch_execz .LBB0_49
; %bb.48:                               ;   in Loop: Header=BB0_34 Depth=1
	v_cmp_ge_f64_e64 s[6:7], |v[0:1]|, s[52:53]
	v_cndmask_b32_e64 v15, v9, v15, s[6:7]
	v_cndmask_b32_e64 v14, v0, v14, s[6:7]
	v_mul_f64 v[42:43], v[6:7], v[14:15]
	v_mul_f64 v[16:17], v[4:5], v[14:15]
	v_fma_f64 v[6:7], v[6:7], v[14:15], -v[42:43]
	v_add_f64 v[44:45], v[16:17], v[6:7]
	v_add_f64 v[46:47], v[42:43], v[44:45]
	v_ldexp_f64 v[48:49], v[46:47], -2
	v_fract_f64_e32 v[50:51], v[48:49]
	v_cmp_neq_f64_e64 s[6:7], |v[48:49]|, s[54:55]
	v_cndmask_b32_e64 v49, 0, v51, s[6:7]
	v_cndmask_b32_e64 v48, 0, v50, s[6:7]
	v_add_f64 v[50:51], v[44:45], -v[16:17]
	v_add_f64 v[6:7], v[6:7], -v[50:51]
	;; [unrolled: 1-line block ×4, first 2 shown]
	v_fma_f64 v[4:5], v[4:5], v[14:15], -v[16:17]
	v_mul_f64 v[16:17], v[2:3], v[14:15]
	v_add_f64 v[6:7], v[6:7], v[50:51]
	v_add_f64 v[50:51], v[16:17], v[4:5]
	;; [unrolled: 1-line block ×3, first 2 shown]
	v_add_f64 v[42:43], v[46:47], -v[42:43]
	v_add_f64 v[46:47], v[58:59], -v[50:51]
	;; [unrolled: 1-line block ×5, first 2 shown]
	v_add_f64 v[6:7], v[6:7], v[46:47]
	v_add_f64 v[46:47], v[50:51], -v[16:17]
	v_add_f64 v[4:5], v[4:5], -v[46:47]
	;; [unrolled: 1-line block ×4, first 2 shown]
	v_add_f64 v[4:5], v[4:5], v[46:47]
	v_add_f64 v[42:43], v[44:45], -v[42:43]
	v_add_f64 v[4:5], v[4:5], v[6:7]
	v_fma_f64 v[2:3], v[2:3], v[14:15], -v[16:17]
	v_add_f64 v[44:45], v[42:43], v[58:59]
	v_add_f64 v[2:3], v[2:3], v[4:5]
	v_ldexp_f64 v[4:5], v[48:49], 2
	v_add_f64 v[6:7], v[44:45], v[4:5]
	v_cmp_gt_f64_e64 s[6:7], 0, v[6:7]
	v_cndmask_b32_e64 v91, 0, v54, s[6:7]
	v_add_f64 v[4:5], v[4:5], v[90:91]
	v_add_f64 v[6:7], v[44:45], v[4:5]
	v_cvt_i32_f64_e32 v9, v[6:7]
	v_cvt_f64_i32_e32 v[6:7], v9
	v_add_f64 v[4:5], v[4:5], -v[6:7]
	v_add_f64 v[42:43], v[44:45], -v[42:43]
	v_add_f64 v[6:7], v[44:45], v[4:5]
	v_add_f64 v[42:43], v[58:59], -v[42:43]
	v_add_f64 v[4:5], v[6:7], -v[4:5]
	v_cmp_le_f64_e64 s[6:7], 0.5, v[6:7]
	v_add_f64 v[2:3], v[42:43], v[2:3]
	v_add_f64 v[4:5], v[44:45], -v[4:5]
	v_cndmask_b32_e64 v91, 0, v55, s[6:7]
	v_add_f64 v[2:3], v[2:3], v[4:5]
	v_add_f64 v[4:5], v[6:7], -v[90:91]
	v_add_f64 v[6:7], v[4:5], v[2:3]
	v_add_f64 v[4:5], v[6:7], -v[4:5]
	v_add_f64 v[2:3], v[2:3], -v[4:5]
	v_mul_f64 v[4:5], v[6:7], s[56:57]
	v_fma_f64 v[14:15], v[6:7], s[56:57], -v[4:5]
	v_fmac_f64_e32 v[14:15], s[58:59], v[6:7]
	v_fmac_f64_e32 v[14:15], s[56:57], v[2:3]
	v_add_f64 v[16:17], v[4:5], v[14:15]
	v_add_f64 v[2:3], v[16:17], -v[4:5]
	v_addc_co_u32_e64 v11, s[8:9], 0, v9, s[6:7]
	v_add_f64 v[42:43], v[14:15], -v[2:3]
.LBB0_49:                               ;   in Loop: Header=BB0_34 Depth=1
	s_andn2_saveexec_b64 s[6:7], s[10:11]
	s_cbranch_execz .LBB0_51
; %bb.50:                               ;   in Loop: Header=BB0_34 Depth=1
	v_mul_f64 v[2:3], |v[0:1]|, s[60:61]
	v_rndne_f64_e32 v[2:3], v[2:3]
	s_mov_b32 s62, s56
	v_fma_f64 v[4:5], v[2:3], s[62:63], |v[0:1]|
	v_mul_f64 v[14:15], v[2:3], s[64:65]
	v_add_f64 v[42:43], v[4:5], v[14:15]
	v_fma_f64 v[6:7], s[64:65], v[2:3], v[4:5]
	s_mov_b32 s8, s64
	s_mov_b32 s9, s59
	v_add_f64 v[4:5], v[4:5], -v[42:43]
	v_fma_f64 v[16:17], s[8:9], v[2:3], v[14:15]
	v_add_f64 v[4:5], v[4:5], v[14:15]
	v_add_f64 v[14:15], v[42:43], -v[6:7]
	v_add_f64 v[4:5], v[14:15], v[4:5]
	v_add_f64 v[4:5], v[4:5], -v[16:17]
	v_fmac_f64_e32 v[4:5], s[66:67], v[2:3]
	v_add_f64 v[16:17], v[6:7], v[4:5]
	v_add_f64 v[6:7], v[16:17], -v[6:7]
	v_add_f64 v[42:43], v[4:5], -v[6:7]
	v_cvt_i32_f64_e32 v11, v[2:3]
.LBB0_51:                               ;   in Loop: Header=BB0_34 Depth=1
	s_or_b64 exec, exec, s[6:7]
	v_mul_f64 v[2:3], v[16:17], v[16:17]
	v_pk_mov_b32 v[44:45], v[24:25], v[24:25] op_sel:[0,1]
	v_mul_f64 v[4:5], v[2:3], 0.5
	v_fmac_f64_e32 v[44:45], s[70:71], v[2:3]
	v_pk_mov_b32 v[46:47], v[26:27], v[26:27] op_sel:[0,1]
	v_add_f64 v[6:7], -v[4:5], 1.0
	v_fmac_f64_e32 v[46:47], v[2:3], v[44:45]
	v_pk_mov_b32 v[44:45], v[28:29], v[28:29] op_sel:[0,1]
	v_add_f64 v[14:15], -v[6:7], 1.0
	v_fmac_f64_e32 v[44:45], v[2:3], v[46:47]
	v_pk_mov_b32 v[46:47], v[30:31], v[30:31] op_sel:[0,1]
	v_add_f64 v[4:5], v[14:15], -v[4:5]
	v_fmac_f64_e32 v[46:47], v[2:3], v[44:45]
	v_pk_mov_b32 v[44:45], v[32:33], v[32:33] op_sel:[0,1]
	v_mul_f64 v[14:15], v[2:3], v[2:3]
	v_fmac_f64_e32 v[44:45], v[2:3], v[46:47]
	v_fma_f64 v[4:5], v[16:17], -v[42:43], v[4:5]
	v_fmac_f64_e32 v[4:5], v[14:15], v[44:45]
	v_add_f64 v[4:5], v[6:7], v[4:5]
	v_pk_mov_b32 v[6:7], v[34:35], v[34:35] op_sel:[0,1]
	v_fmac_f64_e32 v[6:7], s[84:85], v[2:3]
	v_pk_mov_b32 v[14:15], v[36:37], v[36:37] op_sel:[0,1]
	v_fmac_f64_e32 v[14:15], v[2:3], v[6:7]
	;; [unrolled: 2-line block ×4, first 2 shown]
	v_mul_f64 v[6:7], v[16:17], -v[2:3]
	v_mul_f64 v[44:45], v[42:43], 0.5
	v_fmac_f64_e32 v[44:45], v[6:7], v[14:15]
	v_fma_f64 v[2:3], v[2:3], v[44:45], -v[42:43]
	v_fmac_f64_e32 v[2:3], s[80:81], v[6:7]
	v_and_b32_e32 v0, 1, v11
	v_add_f64 v[2:3], v[16:17], -v[2:3]
	v_cmp_eq_u32_e64 s[6:7], 0, v0
	v_cndmask_b32_e64 v0, v4, v2, s[6:7]
	v_cndmask_b32_e64 v2, v5, v3, s[6:7]
	v_lshlrev_b32_e32 v3, 30, v11
	v_xor_b32_e32 v1, v3, v1
	v_and_b32_e32 v1, 0x80000000, v1
	v_xor_b32_e32 v1, v2, v1
	v_cndmask_b32_e32 v0, 0, v0, vcc
	v_cndmask_b32_e64 v1, v76, -v1, vcc
	buffer_store_dword v0, off, s[0:3], 0 offset:24
	buffer_store_dword v1, off, s[0:3], 0 offset:28
	global_load_dwordx2 v[0:1], v[12:13], off offset:16
	s_mov_b32 s6, 0
	s_mov_b32 s7, 0x40080000
                                        ; implicit-def: $vgpr11
	s_waitcnt vmcnt(0)
	v_mul_f64 v[2:3], v[20:21], v[0:1]
	v_mul_f64 v[4:5], v[2:3], s[6:7]
	v_fma_f64 v[2:3], -v[2:3], v[2:3], s[6:7]
	v_div_scale_f64 v[6:7], s[6:7], v[2:3], v[2:3], v[4:5]
	v_rcp_f64_e32 v[14:15], v[6:7]
	v_fma_f64 v[16:17], -v[6:7], v[14:15], 1.0
	v_fmac_f64_e32 v[14:15], v[14:15], v[16:17]
	v_fma_f64 v[16:17], -v[6:7], v[14:15], 1.0
	v_fmac_f64_e32 v[14:15], v[14:15], v[16:17]
	v_div_scale_f64 v[16:17], vcc, v[4:5], v[2:3], v[4:5]
	v_mul_f64 v[42:43], v[16:17], v[14:15]
	v_fma_f64 v[6:7], -v[6:7], v[42:43], v[16:17]
	s_nop 1
	v_div_fmas_f64 v[6:7], v[6:7], v[14:15], v[42:43]
	v_div_fixup_f64 v[2:3], v[6:7], v[2:3], v[4:5]
	v_and_b32_e32 v5, 0x7fffffff, v3
	v_mov_b32_e32 v4, v2
	v_div_scale_f64 v[6:7], s[8:9], v[4:5], v[4:5], 1.0
	v_rcp_f64_e32 v[14:15], v[6:7]
	v_cmp_gt_f64_e64 s[6:7], |v[2:3]|, 1.0
	s_mov_b32 s8, 0xb5e68a13
	s_mov_b32 s9, 0x3eeba404
	v_fma_f64 v[16:17], -v[6:7], v[14:15], 1.0
	v_fmac_f64_e32 v[14:15], v[14:15], v[16:17]
	v_fma_f64 v[16:17], -v[6:7], v[14:15], 1.0
	v_fmac_f64_e32 v[14:15], v[14:15], v[16:17]
	v_div_scale_f64 v[16:17], vcc, 1.0, v[4:5], 1.0
	v_mul_f64 v[42:43], v[16:17], v[14:15]
	v_fma_f64 v[6:7], -v[6:7], v[42:43], v[16:17]
	s_nop 1
	v_div_fmas_f64 v[6:7], v[6:7], v[14:15], v[42:43]
	buffer_load_dword v14, off, s[0:3], 0 offset:64 ; 4-byte Folded Reload
	buffer_load_dword v15, off, s[0:3], 0 offset:68 ; 4-byte Folded Reload
	;; [unrolled: 1-line block ×4, first 2 shown]
	v_div_fixup_f64 v[6:7], v[6:7], |v[2:3]|, 1.0
	v_cndmask_b32_e64 v5, v5, v7, s[6:7]
	v_cndmask_b32_e64 v4, v4, v6, s[6:7]
	v_mul_f64 v[6:7], v[4:5], v[4:5]
	s_waitcnt vmcnt(2)
	v_fmac_f64_e32 v[14:15], s[8:9], v[6:7]
	s_waitcnt vmcnt(0)
	v_fmac_f64_e32 v[16:17], v[6:7], v[14:15]
	buffer_load_dword v14, off, s[0:3], 0 offset:80 ; 4-byte Folded Reload
	buffer_load_dword v15, off, s[0:3], 0 offset:84 ; 4-byte Folded Reload
	s_mov_b32 s8, 0x336a0500
	s_mov_b32 s9, 0x3fedd9ad
	s_waitcnt vmcnt(0)
	v_fmac_f64_e32 v[14:15], v[6:7], v[16:17]
	buffer_load_dword v16, off, s[0:3], 0 offset:88 ; 4-byte Folded Reload
	buffer_load_dword v17, off, s[0:3], 0 offset:92 ; 4-byte Folded Reload
	s_waitcnt vmcnt(0)
	v_fmac_f64_e32 v[16:17], v[6:7], v[14:15]
	buffer_load_dword v14, off, s[0:3], 0 offset:96 ; 4-byte Folded Reload
	buffer_load_dword v15, off, s[0:3], 0 offset:100 ; 4-byte Folded Reload
	;; [unrolled: 4-line block ×13, first 2 shown]
	buffer_load_dword v42, off, s[0:3], 0 offset:192 ; 4-byte Folded Reload
	buffer_load_dword v43, off, s[0:3], 0 offset:196 ; 4-byte Folded Reload
	s_waitcnt vmcnt(2)
	v_fmac_f64_e32 v[16:17], v[6:7], v[14:15]
	buffer_load_dword v14, off, s[0:3], 0 offset:200 ; 4-byte Folded Reload
	buffer_load_dword v15, off, s[0:3], 0 offset:204 ; 4-byte Folded Reload
	s_waitcnt vmcnt(2)
	v_fmac_f64_e32 v[42:43], v[6:7], v[16:17]
	v_pk_mov_b32 v[16:17], v[82:83], v[82:83] op_sel:[0,1]
	s_waitcnt vmcnt(0)
	v_fmac_f64_e32 v[14:15], v[6:7], v[42:43]
	v_fmac_f64_e32 v[16:17], v[6:7], v[14:15]
	v_mul_f64 v[6:7], v[6:7], v[16:17]
	v_fmac_f64_e32 v[4:5], v[4:5], v[6:7]
	buffer_load_dword v6, off, s[0:3], 0 offset:208 ; 4-byte Folded Reload
	buffer_load_dword v7, off, s[0:3], 0 offset:212 ; 4-byte Folded Reload
                                        ; implicit-def: $vgpr16_vgpr17
                                        ; implicit-def: $vgpr42_vgpr43
	s_waitcnt vmcnt(0)
	v_fma_f64 v[6:7], s[8:9], v[6:7], -v[4:5]
	v_cndmask_b32_e64 v2, v4, v6, s[6:7]
	v_cndmask_b32_e64 v4, v5, v7, s[6:7]
	v_bfi_b32 v3, s99, v4, v3
	v_fma_f64 v[0:1], v[20:21], v[0:1], -v[2:3]
	v_add_f64 v[0:1], v[0:1], v[0:1]
	v_cmp_nlt_f64_e64 s[8:9], |v[0:1]|, s[50:51]
	v_trig_preop_f64 v[6:7], |v[0:1]|, 0
	v_trig_preop_f64 v[4:5], |v[0:1]|, 1
	v_ldexp_f64 v[14:15], |v[0:1]|, s94
	v_trig_preop_f64 v[2:3], |v[0:1]|, 2
	v_and_b32_e32 v9, 0x7fffffff, v1
	s_and_saveexec_b64 s[6:7], s[8:9]
	s_xor_b64 s[10:11], exec, s[6:7]
	s_cbranch_execz .LBB0_53
; %bb.52:                               ;   in Loop: Header=BB0_34 Depth=1
	v_cmp_ge_f64_e64 vcc, |v[0:1]|, s[52:53]
	v_cndmask_b32_e32 v17, v9, v15, vcc
	v_cndmask_b32_e32 v16, v0, v14, vcc
	v_mul_f64 v[44:45], v[6:7], v[16:17]
	v_mul_f64 v[42:43], v[4:5], v[16:17]
	v_fma_f64 v[46:47], v[6:7], v[16:17], -v[44:45]
	v_add_f64 v[48:49], v[42:43], v[46:47]
	v_add_f64 v[50:51], v[44:45], v[48:49]
	v_ldexp_f64 v[58:59], v[50:51], -2
	v_fract_f64_e32 v[60:61], v[58:59]
	v_cmp_neq_f64_e64 vcc, |v[58:59]|, s[54:55]
	v_cndmask_b32_e32 v59, 0, v61, vcc
	v_cndmask_b32_e32 v58, 0, v60, vcc
	v_add_f64 v[60:61], v[48:49], -v[42:43]
	v_add_f64 v[46:47], v[46:47], -v[60:61]
	;; [unrolled: 1-line block ×4, first 2 shown]
	v_add_f64 v[46:47], v[46:47], v[60:61]
	v_fma_f64 v[42:43], v[4:5], v[16:17], -v[42:43]
	v_mul_f64 v[60:61], v[2:3], v[16:17]
	v_add_f64 v[62:63], v[60:61], v[42:43]
	v_add_f64 v[64:65], v[62:63], v[46:47]
	v_add_f64 v[44:45], v[50:51], -v[44:45]
	v_add_f64 v[50:51], v[64:65], -v[62:63]
	;; [unrolled: 1-line block ×5, first 2 shown]
	v_add_f64 v[46:47], v[46:47], v[50:51]
	v_add_f64 v[50:51], v[62:63], -v[60:61]
	v_add_f64 v[42:43], v[42:43], -v[50:51]
	;; [unrolled: 1-line block ×5, first 2 shown]
	v_add_f64 v[48:49], v[44:45], v[64:65]
	v_add_f64 v[42:43], v[42:43], v[50:51]
	v_add_f64 v[44:45], v[48:49], -v[44:45]
	v_add_f64 v[42:43], v[42:43], v[46:47]
	v_fma_f64 v[16:17], v[2:3], v[16:17], -v[60:61]
	v_add_f64 v[44:45], v[64:65], -v[44:45]
	v_add_f64 v[16:17], v[16:17], v[42:43]
	v_ldexp_f64 v[42:43], v[58:59], 2
	v_add_f64 v[16:17], v[44:45], v[16:17]
	v_add_f64 v[44:45], v[48:49], v[42:43]
	v_cmp_gt_f64_e32 vcc, 0, v[44:45]
	v_cndmask_b32_e32 v91, 0, v54, vcc
	v_add_f64 v[42:43], v[42:43], v[90:91]
	v_add_f64 v[44:45], v[48:49], v[42:43]
	v_cvt_i32_f64_e32 v11, v[44:45]
	v_cvt_f64_i32_e32 v[44:45], v11
	v_add_f64 v[42:43], v[42:43], -v[44:45]
	v_add_f64 v[44:45], v[48:49], v[42:43]
	v_add_f64 v[42:43], v[44:45], -v[42:43]
	v_cmp_le_f64_e32 vcc, 0.5, v[44:45]
	v_add_f64 v[42:43], v[48:49], -v[42:43]
	v_cndmask_b32_e32 v91, 0, v55, vcc
	v_add_f64 v[16:17], v[16:17], v[42:43]
	v_add_f64 v[42:43], v[44:45], -v[90:91]
	v_add_f64 v[44:45], v[42:43], v[16:17]
	v_add_f64 v[42:43], v[44:45], -v[42:43]
	v_add_f64 v[16:17], v[16:17], -v[42:43]
	v_mul_f64 v[42:43], v[44:45], s[56:57]
	v_fma_f64 v[46:47], v[44:45], s[56:57], -v[42:43]
	v_fmac_f64_e32 v[46:47], s[58:59], v[44:45]
	v_fmac_f64_e32 v[46:47], s[56:57], v[16:17]
	v_add_f64 v[16:17], v[42:43], v[46:47]
	v_add_f64 v[42:43], v[16:17], -v[42:43]
	v_addc_co_u32_e64 v11, s[6:7], 0, v11, vcc
	v_add_f64 v[42:43], v[46:47], -v[42:43]
.LBB0_53:                               ;   in Loop: Header=BB0_34 Depth=1
	s_andn2_saveexec_b64 s[6:7], s[10:11]
	s_cbranch_execz .LBB0_55
; %bb.54:                               ;   in Loop: Header=BB0_34 Depth=1
	v_mul_f64 v[16:17], |v[0:1]|, s[60:61]
	v_rndne_f64_e32 v[44:45], v[16:17]
	s_mov_b32 s62, s56
	v_fma_f64 v[16:17], v[44:45], s[62:63], |v[0:1]|
	v_mul_f64 v[46:47], v[44:45], s[64:65]
	v_add_f64 v[50:51], v[16:17], v[46:47]
	v_fma_f64 v[42:43], s[64:65], v[44:45], v[16:17]
	s_mov_b32 s10, s64
	s_mov_b32 s11, s59
	v_add_f64 v[16:17], v[16:17], -v[50:51]
	v_fma_f64 v[48:49], s[10:11], v[44:45], v[46:47]
	v_add_f64 v[16:17], v[16:17], v[46:47]
	v_add_f64 v[46:47], v[50:51], -v[42:43]
	v_add_f64 v[16:17], v[46:47], v[16:17]
	v_add_f64 v[46:47], v[16:17], -v[48:49]
	v_fmac_f64_e32 v[46:47], s[66:67], v[44:45]
	v_add_f64 v[16:17], v[42:43], v[46:47]
	v_add_f64 v[42:43], v[16:17], -v[42:43]
	v_add_f64 v[42:43], v[46:47], -v[42:43]
	v_cvt_i32_f64_e32 v11, v[44:45]
.LBB0_55:                               ;   in Loop: Header=BB0_34 Depth=1
	s_or_b64 exec, exec, s[6:7]
	v_mul_f64 v[44:45], v[16:17], v[16:17]
	v_pk_mov_b32 v[58:59], v[24:25], v[24:25] op_sel:[0,1]
	v_mul_f64 v[46:47], v[44:45], 0.5
	v_fmac_f64_e32 v[58:59], s[70:71], v[44:45]
	v_pk_mov_b32 v[60:61], v[26:27], v[26:27] op_sel:[0,1]
	v_add_f64 v[48:49], -v[46:47], 1.0
	v_fmac_f64_e32 v[60:61], v[44:45], v[58:59]
	v_pk_mov_b32 v[58:59], v[28:29], v[28:29] op_sel:[0,1]
	v_add_f64 v[50:51], -v[48:49], 1.0
	v_fmac_f64_e32 v[58:59], v[44:45], v[60:61]
	v_pk_mov_b32 v[60:61], v[30:31], v[30:31] op_sel:[0,1]
	v_add_f64 v[46:47], v[50:51], -v[46:47]
	v_fmac_f64_e32 v[60:61], v[44:45], v[58:59]
	v_pk_mov_b32 v[58:59], v[32:33], v[32:33] op_sel:[0,1]
	v_mul_f64 v[50:51], v[44:45], v[44:45]
	v_fmac_f64_e32 v[58:59], v[44:45], v[60:61]
	v_fma_f64 v[46:47], v[16:17], -v[42:43], v[46:47]
	v_fmac_f64_e32 v[46:47], v[50:51], v[58:59]
	v_add_f64 v[46:47], v[48:49], v[46:47]
	v_pk_mov_b32 v[48:49], v[34:35], v[34:35] op_sel:[0,1]
	v_fmac_f64_e32 v[48:49], s[84:85], v[44:45]
	v_pk_mov_b32 v[50:51], v[36:37], v[36:37] op_sel:[0,1]
	v_fmac_f64_e32 v[50:51], v[44:45], v[48:49]
	;; [unrolled: 2-line block ×4, first 2 shown]
	v_mul_f64 v[48:49], v[16:17], -v[44:45]
	v_mul_f64 v[58:59], v[42:43], 0.5
	v_fmac_f64_e32 v[58:59], v[48:49], v[50:51]
	v_fma_f64 v[42:43], v[44:45], v[58:59], -v[42:43]
	v_fmac_f64_e32 v[42:43], s[80:81], v[48:49]
	v_add_f64 v[16:17], v[16:17], -v[42:43]
	v_and_b32_e32 v42, 1, v11
	v_xor_b32_e32 v17, 0x80000000, v17
	v_cmp_eq_u32_e32 vcc, 0, v42
	v_lshlrev_b32_e32 v11, 30, v11
	v_cndmask_b32_e32 v17, v17, v47, vcc
	v_and_b32_e32 v11, 0x80000000, v11
	v_cndmask_b32_e32 v16, v16, v46, vcc
	v_xor_b32_e32 v11, v17, v11
	v_cmp_class_f64_e64 vcc, v[0:1], s95
	v_cndmask_b32_e32 v11, v56, v11, vcc
	v_cndmask_b32_e32 v16, 0, v16, vcc
	buffer_store_dword v16, off, s[0:3], 0 offset:32
	buffer_store_dword v11, off, s[0:3], 0 offset:36
                                        ; implicit-def: $vgpr11
                                        ; implicit-def: $vgpr16_vgpr17
                                        ; implicit-def: $vgpr42_vgpr43
	s_and_saveexec_b64 s[6:7], s[8:9]
	s_xor_b64 s[10:11], exec, s[6:7]
	s_cbranch_execz .LBB0_57
; %bb.56:                               ;   in Loop: Header=BB0_34 Depth=1
	v_cmp_ge_f64_e64 s[6:7], |v[0:1]|, s[52:53]
	v_cndmask_b32_e64 v15, v9, v15, s[6:7]
	v_cndmask_b32_e64 v14, v0, v14, s[6:7]
	v_mul_f64 v[42:43], v[6:7], v[14:15]
	v_mul_f64 v[16:17], v[4:5], v[14:15]
	v_fma_f64 v[6:7], v[6:7], v[14:15], -v[42:43]
	v_add_f64 v[44:45], v[16:17], v[6:7]
	v_add_f64 v[46:47], v[42:43], v[44:45]
	v_ldexp_f64 v[48:49], v[46:47], -2
	v_fract_f64_e32 v[50:51], v[48:49]
	v_cmp_neq_f64_e64 s[6:7], |v[48:49]|, s[54:55]
	v_cndmask_b32_e64 v49, 0, v51, s[6:7]
	v_cndmask_b32_e64 v48, 0, v50, s[6:7]
	v_add_f64 v[50:51], v[44:45], -v[16:17]
	v_add_f64 v[6:7], v[6:7], -v[50:51]
	v_add_f64 v[50:51], v[44:45], -v[50:51]
	v_add_f64 v[50:51], v[16:17], -v[50:51]
	v_fma_f64 v[4:5], v[4:5], v[14:15], -v[16:17]
	v_mul_f64 v[16:17], v[2:3], v[14:15]
	v_add_f64 v[6:7], v[6:7], v[50:51]
	v_add_f64 v[50:51], v[16:17], v[4:5]
	;; [unrolled: 1-line block ×3, first 2 shown]
	v_add_f64 v[42:43], v[46:47], -v[42:43]
	v_add_f64 v[46:47], v[58:59], -v[50:51]
	;; [unrolled: 1-line block ×5, first 2 shown]
	v_add_f64 v[6:7], v[6:7], v[46:47]
	v_add_f64 v[46:47], v[50:51], -v[16:17]
	v_add_f64 v[4:5], v[4:5], -v[46:47]
	;; [unrolled: 1-line block ×4, first 2 shown]
	v_add_f64 v[4:5], v[4:5], v[46:47]
	v_add_f64 v[42:43], v[44:45], -v[42:43]
	v_add_f64 v[4:5], v[4:5], v[6:7]
	v_fma_f64 v[2:3], v[2:3], v[14:15], -v[16:17]
	v_add_f64 v[44:45], v[42:43], v[58:59]
	v_add_f64 v[2:3], v[2:3], v[4:5]
	v_ldexp_f64 v[4:5], v[48:49], 2
	v_add_f64 v[6:7], v[44:45], v[4:5]
	v_cmp_gt_f64_e64 s[6:7], 0, v[6:7]
	v_cndmask_b32_e64 v91, 0, v54, s[6:7]
	v_add_f64 v[4:5], v[4:5], v[90:91]
	v_add_f64 v[6:7], v[44:45], v[4:5]
	v_cvt_i32_f64_e32 v9, v[6:7]
	v_cvt_f64_i32_e32 v[6:7], v9
	v_add_f64 v[4:5], v[4:5], -v[6:7]
	v_add_f64 v[42:43], v[44:45], -v[42:43]
	v_add_f64 v[6:7], v[44:45], v[4:5]
	v_add_f64 v[42:43], v[58:59], -v[42:43]
	v_add_f64 v[4:5], v[6:7], -v[4:5]
	v_cmp_le_f64_e64 s[6:7], 0.5, v[6:7]
	v_add_f64 v[2:3], v[42:43], v[2:3]
	v_add_f64 v[4:5], v[44:45], -v[4:5]
	v_cndmask_b32_e64 v91, 0, v55, s[6:7]
	v_add_f64 v[2:3], v[2:3], v[4:5]
	v_add_f64 v[4:5], v[6:7], -v[90:91]
	v_add_f64 v[6:7], v[4:5], v[2:3]
	v_add_f64 v[4:5], v[6:7], -v[4:5]
	v_add_f64 v[2:3], v[2:3], -v[4:5]
	v_mul_f64 v[4:5], v[6:7], s[56:57]
	v_fma_f64 v[14:15], v[6:7], s[56:57], -v[4:5]
	v_fmac_f64_e32 v[14:15], s[58:59], v[6:7]
	v_fmac_f64_e32 v[14:15], s[56:57], v[2:3]
	v_add_f64 v[16:17], v[4:5], v[14:15]
	v_add_f64 v[2:3], v[16:17], -v[4:5]
	v_addc_co_u32_e64 v11, s[8:9], 0, v9, s[6:7]
	v_add_f64 v[42:43], v[14:15], -v[2:3]
.LBB0_57:                               ;   in Loop: Header=BB0_34 Depth=1
	s_andn2_saveexec_b64 s[6:7], s[10:11]
	s_cbranch_execz .LBB0_59
; %bb.58:                               ;   in Loop: Header=BB0_34 Depth=1
	v_mul_f64 v[2:3], |v[0:1]|, s[60:61]
	v_rndne_f64_e32 v[2:3], v[2:3]
	s_mov_b32 s62, s56
	v_fma_f64 v[4:5], v[2:3], s[62:63], |v[0:1]|
	v_mul_f64 v[14:15], v[2:3], s[64:65]
	v_add_f64 v[42:43], v[4:5], v[14:15]
	v_fma_f64 v[6:7], s[64:65], v[2:3], v[4:5]
	s_mov_b32 s8, s64
	s_mov_b32 s9, s59
	v_add_f64 v[4:5], v[4:5], -v[42:43]
	v_fma_f64 v[16:17], s[8:9], v[2:3], v[14:15]
	v_add_f64 v[4:5], v[4:5], v[14:15]
	v_add_f64 v[14:15], v[42:43], -v[6:7]
	v_add_f64 v[4:5], v[14:15], v[4:5]
	v_add_f64 v[4:5], v[4:5], -v[16:17]
	v_fmac_f64_e32 v[4:5], s[66:67], v[2:3]
	v_add_f64 v[16:17], v[6:7], v[4:5]
	v_add_f64 v[6:7], v[16:17], -v[6:7]
	v_add_f64 v[42:43], v[4:5], -v[6:7]
	v_cvt_i32_f64_e32 v11, v[2:3]
.LBB0_59:                               ;   in Loop: Header=BB0_34 Depth=1
	s_or_b64 exec, exec, s[6:7]
	v_mul_f64 v[2:3], v[16:17], v[16:17]
	v_pk_mov_b32 v[44:45], v[24:25], v[24:25] op_sel:[0,1]
	v_mul_f64 v[4:5], v[2:3], 0.5
	v_fmac_f64_e32 v[44:45], s[70:71], v[2:3]
	v_pk_mov_b32 v[46:47], v[26:27], v[26:27] op_sel:[0,1]
	v_add_f64 v[6:7], -v[4:5], 1.0
	v_fmac_f64_e32 v[46:47], v[2:3], v[44:45]
	v_pk_mov_b32 v[44:45], v[28:29], v[28:29] op_sel:[0,1]
	v_add_f64 v[14:15], -v[6:7], 1.0
	v_fmac_f64_e32 v[44:45], v[2:3], v[46:47]
	v_pk_mov_b32 v[46:47], v[30:31], v[30:31] op_sel:[0,1]
	v_add_f64 v[4:5], v[14:15], -v[4:5]
	v_fmac_f64_e32 v[46:47], v[2:3], v[44:45]
	v_pk_mov_b32 v[44:45], v[32:33], v[32:33] op_sel:[0,1]
	v_mul_f64 v[14:15], v[2:3], v[2:3]
	v_fmac_f64_e32 v[44:45], v[2:3], v[46:47]
	v_fma_f64 v[4:5], v[16:17], -v[42:43], v[4:5]
	v_fmac_f64_e32 v[4:5], v[14:15], v[44:45]
	v_add_f64 v[4:5], v[6:7], v[4:5]
	v_pk_mov_b32 v[6:7], v[34:35], v[34:35] op_sel:[0,1]
	v_fmac_f64_e32 v[6:7], s[84:85], v[2:3]
	v_pk_mov_b32 v[14:15], v[36:37], v[36:37] op_sel:[0,1]
	v_fmac_f64_e32 v[14:15], v[2:3], v[6:7]
	v_pk_mov_b32 v[6:7], v[38:39], v[38:39] op_sel:[0,1]
	v_fmac_f64_e32 v[6:7], v[2:3], v[14:15]
	v_pk_mov_b32 v[14:15], v[40:41], v[40:41] op_sel:[0,1]
	v_fmac_f64_e32 v[14:15], v[2:3], v[6:7]
	v_mul_f64 v[6:7], v[16:17], -v[2:3]
	v_mul_f64 v[44:45], v[42:43], 0.5
	v_fmac_f64_e32 v[44:45], v[6:7], v[14:15]
	v_fma_f64 v[2:3], v[2:3], v[44:45], -v[42:43]
	v_fmac_f64_e32 v[2:3], s[80:81], v[6:7]
	v_and_b32_e32 v0, 1, v11
	v_add_f64 v[2:3], v[16:17], -v[2:3]
	v_cmp_eq_u32_e64 s[6:7], 0, v0
	v_cndmask_b32_e64 v0, v4, v2, s[6:7]
	v_cndmask_b32_e64 v2, v5, v3, s[6:7]
	v_lshlrev_b32_e32 v3, 30, v11
	v_xor_b32_e32 v1, v3, v1
	v_and_b32_e32 v1, 0x80000000, v1
	v_xor_b32_e32 v1, v2, v1
	v_cndmask_b32_e32 v0, 0, v0, vcc
	v_cndmask_b32_e64 v1, v76, -v1, vcc
	buffer_store_dword v0, off, s[0:3], 0 offset:40
	buffer_store_dword v1, off, s[0:3], 0 offset:44
	global_load_dwordx2 v[0:1], v[12:13], off offset:24
	v_mov_b32_e32 v4, 0
	s_mov_b32 s6, 0
	v_mov_b32_e32 v5, 0x402e0000
	s_mov_b32 s7, 0xc0180000
                                        ; implicit-def: $vgpr11
	s_waitcnt vmcnt(0)
	v_mul_f64 v[2:3], v[20:21], v[0:1]
	v_fma_f64 v[6:7], -v[2:3], v[2:3], v[4:5]
	v_mul_f64 v[14:15], v[2:3], s[6:7]
	v_mul_f64 v[6:7], v[2:3], v[6:7]
	v_fmac_f64_e32 v[4:5], v[2:3], v[14:15]
	v_div_scale_f64 v[2:3], s[6:7], v[4:5], v[4:5], v[6:7]
	v_rcp_f64_e32 v[14:15], v[2:3]
	v_fma_f64 v[16:17], -v[2:3], v[14:15], 1.0
	v_fmac_f64_e32 v[14:15], v[14:15], v[16:17]
	v_fma_f64 v[16:17], -v[2:3], v[14:15], 1.0
	v_fmac_f64_e32 v[14:15], v[14:15], v[16:17]
	v_div_scale_f64 v[16:17], vcc, v[6:7], v[4:5], v[6:7]
	v_mul_f64 v[42:43], v[16:17], v[14:15]
	v_fma_f64 v[2:3], -v[2:3], v[42:43], v[16:17]
	s_nop 1
	v_div_fmas_f64 v[2:3], v[2:3], v[14:15], v[42:43]
	v_div_fixup_f64 v[2:3], v[2:3], v[4:5], v[6:7]
	v_and_b32_e32 v5, 0x7fffffff, v3
	v_mov_b32_e32 v4, v2
	v_div_scale_f64 v[6:7], s[8:9], v[4:5], v[4:5], 1.0
	v_rcp_f64_e32 v[14:15], v[6:7]
	v_cmp_gt_f64_e64 s[6:7], |v[2:3]|, 1.0
	s_mov_b32 s8, 0xb5e68a13
	s_mov_b32 s9, 0x3eeba404
	v_fma_f64 v[16:17], -v[6:7], v[14:15], 1.0
	v_fmac_f64_e32 v[14:15], v[14:15], v[16:17]
	v_fma_f64 v[16:17], -v[6:7], v[14:15], 1.0
	v_fmac_f64_e32 v[14:15], v[14:15], v[16:17]
	v_div_scale_f64 v[16:17], vcc, 1.0, v[4:5], 1.0
	v_mul_f64 v[42:43], v[16:17], v[14:15]
	v_fma_f64 v[6:7], -v[6:7], v[42:43], v[16:17]
	s_nop 1
	v_div_fmas_f64 v[6:7], v[6:7], v[14:15], v[42:43]
	buffer_load_dword v14, off, s[0:3], 0 offset:64 ; 4-byte Folded Reload
	buffer_load_dword v15, off, s[0:3], 0 offset:68 ; 4-byte Folded Reload
	;; [unrolled: 1-line block ×4, first 2 shown]
	v_div_fixup_f64 v[6:7], v[6:7], |v[2:3]|, 1.0
	v_cndmask_b32_e64 v5, v5, v7, s[6:7]
	v_cndmask_b32_e64 v4, v4, v6, s[6:7]
	v_mul_f64 v[6:7], v[4:5], v[4:5]
	s_waitcnt vmcnt(2)
	v_fmac_f64_e32 v[14:15], s[8:9], v[6:7]
	s_waitcnt vmcnt(0)
	v_fmac_f64_e32 v[16:17], v[6:7], v[14:15]
	buffer_load_dword v14, off, s[0:3], 0 offset:80 ; 4-byte Folded Reload
	buffer_load_dword v15, off, s[0:3], 0 offset:84 ; 4-byte Folded Reload
	s_mov_b32 s8, 0x336a0500
	s_mov_b32 s9, 0x3fedd9ad
	s_waitcnt vmcnt(0)
	v_fmac_f64_e32 v[14:15], v[6:7], v[16:17]
	buffer_load_dword v16, off, s[0:3], 0 offset:88 ; 4-byte Folded Reload
	buffer_load_dword v17, off, s[0:3], 0 offset:92 ; 4-byte Folded Reload
	s_waitcnt vmcnt(0)
	v_fmac_f64_e32 v[16:17], v[6:7], v[14:15]
	buffer_load_dword v14, off, s[0:3], 0 offset:96 ; 4-byte Folded Reload
	buffer_load_dword v15, off, s[0:3], 0 offset:100 ; 4-byte Folded Reload
	;; [unrolled: 4-line block ×13, first 2 shown]
	buffer_load_dword v42, off, s[0:3], 0 offset:192 ; 4-byte Folded Reload
	buffer_load_dword v43, off, s[0:3], 0 offset:196 ; 4-byte Folded Reload
	s_waitcnt vmcnt(2)
	v_fmac_f64_e32 v[16:17], v[6:7], v[14:15]
	buffer_load_dword v14, off, s[0:3], 0 offset:200 ; 4-byte Folded Reload
	buffer_load_dword v15, off, s[0:3], 0 offset:204 ; 4-byte Folded Reload
	s_waitcnt vmcnt(2)
	v_fmac_f64_e32 v[42:43], v[6:7], v[16:17]
	v_pk_mov_b32 v[16:17], v[82:83], v[82:83] op_sel:[0,1]
	s_waitcnt vmcnt(0)
	v_fmac_f64_e32 v[14:15], v[6:7], v[42:43]
	v_fmac_f64_e32 v[16:17], v[6:7], v[14:15]
	v_mul_f64 v[6:7], v[6:7], v[16:17]
	v_fmac_f64_e32 v[4:5], v[4:5], v[6:7]
	buffer_load_dword v6, off, s[0:3], 0 offset:208 ; 4-byte Folded Reload
	buffer_load_dword v7, off, s[0:3], 0 offset:212 ; 4-byte Folded Reload
                                        ; implicit-def: $vgpr16_vgpr17
                                        ; implicit-def: $vgpr42_vgpr43
	s_waitcnt vmcnt(0)
	v_fma_f64 v[6:7], s[8:9], v[6:7], -v[4:5]
	v_cndmask_b32_e64 v2, v4, v6, s[6:7]
	v_cndmask_b32_e64 v4, v5, v7, s[6:7]
	v_bfi_b32 v3, s99, v4, v3
	v_fma_f64 v[0:1], v[20:21], v[0:1], -v[2:3]
	v_add_f64 v[0:1], v[0:1], v[0:1]
	v_cmp_nlt_f64_e64 s[8:9], |v[0:1]|, s[50:51]
	v_trig_preop_f64 v[6:7], |v[0:1]|, 0
	v_trig_preop_f64 v[4:5], |v[0:1]|, 1
	v_ldexp_f64 v[14:15], |v[0:1]|, s94
	v_trig_preop_f64 v[2:3], |v[0:1]|, 2
	v_and_b32_e32 v9, 0x7fffffff, v1
	s_and_saveexec_b64 s[6:7], s[8:9]
	s_xor_b64 s[10:11], exec, s[6:7]
	s_cbranch_execz .LBB0_61
; %bb.60:                               ;   in Loop: Header=BB0_34 Depth=1
	v_cmp_ge_f64_e64 vcc, |v[0:1]|, s[52:53]
	v_cndmask_b32_e32 v17, v9, v15, vcc
	v_cndmask_b32_e32 v16, v0, v14, vcc
	v_mul_f64 v[44:45], v[6:7], v[16:17]
	v_mul_f64 v[42:43], v[4:5], v[16:17]
	v_fma_f64 v[46:47], v[6:7], v[16:17], -v[44:45]
	v_add_f64 v[48:49], v[42:43], v[46:47]
	v_add_f64 v[50:51], v[44:45], v[48:49]
	v_ldexp_f64 v[58:59], v[50:51], -2
	v_fract_f64_e32 v[60:61], v[58:59]
	v_cmp_neq_f64_e64 vcc, |v[58:59]|, s[54:55]
	v_cndmask_b32_e32 v59, 0, v61, vcc
	v_cndmask_b32_e32 v58, 0, v60, vcc
	v_add_f64 v[60:61], v[48:49], -v[42:43]
	v_add_f64 v[46:47], v[46:47], -v[60:61]
	;; [unrolled: 1-line block ×4, first 2 shown]
	v_add_f64 v[46:47], v[46:47], v[60:61]
	v_fma_f64 v[42:43], v[4:5], v[16:17], -v[42:43]
	v_mul_f64 v[60:61], v[2:3], v[16:17]
	v_add_f64 v[62:63], v[60:61], v[42:43]
	v_add_f64 v[64:65], v[62:63], v[46:47]
	v_add_f64 v[44:45], v[50:51], -v[44:45]
	v_add_f64 v[50:51], v[64:65], -v[62:63]
	;; [unrolled: 1-line block ×5, first 2 shown]
	v_add_f64 v[46:47], v[46:47], v[50:51]
	v_add_f64 v[50:51], v[62:63], -v[60:61]
	v_add_f64 v[42:43], v[42:43], -v[50:51]
	;; [unrolled: 1-line block ×5, first 2 shown]
	v_add_f64 v[48:49], v[44:45], v[64:65]
	v_add_f64 v[42:43], v[42:43], v[50:51]
	v_add_f64 v[44:45], v[48:49], -v[44:45]
	v_add_f64 v[42:43], v[42:43], v[46:47]
	v_fma_f64 v[16:17], v[2:3], v[16:17], -v[60:61]
	v_add_f64 v[44:45], v[64:65], -v[44:45]
	v_add_f64 v[16:17], v[16:17], v[42:43]
	v_ldexp_f64 v[42:43], v[58:59], 2
	v_add_f64 v[16:17], v[44:45], v[16:17]
	v_add_f64 v[44:45], v[48:49], v[42:43]
	v_cmp_gt_f64_e32 vcc, 0, v[44:45]
	v_cndmask_b32_e32 v91, 0, v54, vcc
	v_add_f64 v[42:43], v[42:43], v[90:91]
	v_add_f64 v[44:45], v[48:49], v[42:43]
	v_cvt_i32_f64_e32 v11, v[44:45]
	v_cvt_f64_i32_e32 v[44:45], v11
	v_add_f64 v[42:43], v[42:43], -v[44:45]
	v_add_f64 v[44:45], v[48:49], v[42:43]
	v_add_f64 v[42:43], v[44:45], -v[42:43]
	v_cmp_le_f64_e32 vcc, 0.5, v[44:45]
	v_add_f64 v[42:43], v[48:49], -v[42:43]
	v_cndmask_b32_e32 v91, 0, v55, vcc
	v_add_f64 v[16:17], v[16:17], v[42:43]
	v_add_f64 v[42:43], v[44:45], -v[90:91]
	v_add_f64 v[44:45], v[42:43], v[16:17]
	v_add_f64 v[42:43], v[44:45], -v[42:43]
	v_add_f64 v[16:17], v[16:17], -v[42:43]
	v_mul_f64 v[42:43], v[44:45], s[56:57]
	v_fma_f64 v[46:47], v[44:45], s[56:57], -v[42:43]
	v_fmac_f64_e32 v[46:47], s[58:59], v[44:45]
	v_fmac_f64_e32 v[46:47], s[56:57], v[16:17]
	v_add_f64 v[16:17], v[42:43], v[46:47]
	v_add_f64 v[42:43], v[16:17], -v[42:43]
	v_addc_co_u32_e64 v11, s[6:7], 0, v11, vcc
	v_add_f64 v[42:43], v[46:47], -v[42:43]
.LBB0_61:                               ;   in Loop: Header=BB0_34 Depth=1
	s_andn2_saveexec_b64 s[6:7], s[10:11]
	s_cbranch_execz .LBB0_63
; %bb.62:                               ;   in Loop: Header=BB0_34 Depth=1
	v_mul_f64 v[16:17], |v[0:1]|, s[60:61]
	v_rndne_f64_e32 v[44:45], v[16:17]
	s_mov_b32 s62, s56
	v_fma_f64 v[16:17], v[44:45], s[62:63], |v[0:1]|
	v_mul_f64 v[46:47], v[44:45], s[64:65]
	v_add_f64 v[50:51], v[16:17], v[46:47]
	v_fma_f64 v[42:43], s[64:65], v[44:45], v[16:17]
	s_mov_b32 s10, s64
	s_mov_b32 s11, s59
	v_add_f64 v[16:17], v[16:17], -v[50:51]
	v_fma_f64 v[48:49], s[10:11], v[44:45], v[46:47]
	v_add_f64 v[16:17], v[16:17], v[46:47]
	v_add_f64 v[46:47], v[50:51], -v[42:43]
	v_add_f64 v[16:17], v[46:47], v[16:17]
	v_add_f64 v[46:47], v[16:17], -v[48:49]
	v_fmac_f64_e32 v[46:47], s[66:67], v[44:45]
	v_add_f64 v[16:17], v[42:43], v[46:47]
	v_add_f64 v[42:43], v[16:17], -v[42:43]
	v_add_f64 v[42:43], v[46:47], -v[42:43]
	v_cvt_i32_f64_e32 v11, v[44:45]
.LBB0_63:                               ;   in Loop: Header=BB0_34 Depth=1
	s_or_b64 exec, exec, s[6:7]
	v_mul_f64 v[44:45], v[16:17], v[16:17]
	v_pk_mov_b32 v[58:59], v[24:25], v[24:25] op_sel:[0,1]
	v_mul_f64 v[46:47], v[44:45], 0.5
	v_fmac_f64_e32 v[58:59], s[70:71], v[44:45]
	v_pk_mov_b32 v[60:61], v[26:27], v[26:27] op_sel:[0,1]
	v_add_f64 v[48:49], -v[46:47], 1.0
	v_fmac_f64_e32 v[60:61], v[44:45], v[58:59]
	v_pk_mov_b32 v[58:59], v[28:29], v[28:29] op_sel:[0,1]
	v_add_f64 v[50:51], -v[48:49], 1.0
	v_fmac_f64_e32 v[58:59], v[44:45], v[60:61]
	v_pk_mov_b32 v[60:61], v[30:31], v[30:31] op_sel:[0,1]
	v_add_f64 v[46:47], v[50:51], -v[46:47]
	v_fmac_f64_e32 v[60:61], v[44:45], v[58:59]
	v_pk_mov_b32 v[58:59], v[32:33], v[32:33] op_sel:[0,1]
	v_mul_f64 v[50:51], v[44:45], v[44:45]
	v_fmac_f64_e32 v[58:59], v[44:45], v[60:61]
	v_fma_f64 v[46:47], v[16:17], -v[42:43], v[46:47]
	v_fmac_f64_e32 v[46:47], v[50:51], v[58:59]
	v_add_f64 v[46:47], v[48:49], v[46:47]
	v_pk_mov_b32 v[48:49], v[34:35], v[34:35] op_sel:[0,1]
	v_fmac_f64_e32 v[48:49], s[84:85], v[44:45]
	v_pk_mov_b32 v[50:51], v[36:37], v[36:37] op_sel:[0,1]
	v_fmac_f64_e32 v[50:51], v[44:45], v[48:49]
	;; [unrolled: 2-line block ×4, first 2 shown]
	v_mul_f64 v[48:49], v[16:17], -v[44:45]
	v_mul_f64 v[58:59], v[42:43], 0.5
	v_fmac_f64_e32 v[58:59], v[48:49], v[50:51]
	v_fma_f64 v[42:43], v[44:45], v[58:59], -v[42:43]
	v_fmac_f64_e32 v[42:43], s[80:81], v[48:49]
	v_add_f64 v[16:17], v[16:17], -v[42:43]
	v_and_b32_e32 v42, 1, v11
	v_xor_b32_e32 v17, 0x80000000, v17
	v_cmp_eq_u32_e32 vcc, 0, v42
	v_lshlrev_b32_e32 v11, 30, v11
	v_cndmask_b32_e32 v17, v17, v47, vcc
	v_and_b32_e32 v11, 0x80000000, v11
	v_cndmask_b32_e32 v16, v16, v46, vcc
	v_xor_b32_e32 v11, v17, v11
	v_cmp_class_f64_e64 vcc, v[0:1], s95
	v_cndmask_b32_e32 v11, v56, v11, vcc
	v_cndmask_b32_e32 v16, 0, v16, vcc
	buffer_store_dword v16, off, s[0:3], 0 offset:48
	buffer_store_dword v11, off, s[0:3], 0 offset:52
                                        ; implicit-def: $vgpr11
                                        ; implicit-def: $vgpr16_vgpr17
                                        ; implicit-def: $vgpr42_vgpr43
	s_and_saveexec_b64 s[6:7], s[8:9]
	s_xor_b64 s[10:11], exec, s[6:7]
	s_cbranch_execz .LBB0_65
; %bb.64:                               ;   in Loop: Header=BB0_34 Depth=1
	v_cmp_ge_f64_e64 s[6:7], |v[0:1]|, s[52:53]
	v_cndmask_b32_e64 v15, v9, v15, s[6:7]
	v_cndmask_b32_e64 v14, v0, v14, s[6:7]
	v_mul_f64 v[42:43], v[6:7], v[14:15]
	v_mul_f64 v[16:17], v[4:5], v[14:15]
	v_fma_f64 v[6:7], v[6:7], v[14:15], -v[42:43]
	v_add_f64 v[44:45], v[16:17], v[6:7]
	v_add_f64 v[46:47], v[42:43], v[44:45]
	v_ldexp_f64 v[48:49], v[46:47], -2
	v_fract_f64_e32 v[50:51], v[48:49]
	v_cmp_neq_f64_e64 s[6:7], |v[48:49]|, s[54:55]
	v_cndmask_b32_e64 v49, 0, v51, s[6:7]
	v_cndmask_b32_e64 v48, 0, v50, s[6:7]
	v_add_f64 v[50:51], v[44:45], -v[16:17]
	v_add_f64 v[6:7], v[6:7], -v[50:51]
	;; [unrolled: 1-line block ×4, first 2 shown]
	v_fma_f64 v[4:5], v[4:5], v[14:15], -v[16:17]
	v_mul_f64 v[16:17], v[2:3], v[14:15]
	v_add_f64 v[6:7], v[6:7], v[50:51]
	v_add_f64 v[50:51], v[16:17], v[4:5]
	;; [unrolled: 1-line block ×3, first 2 shown]
	v_add_f64 v[42:43], v[46:47], -v[42:43]
	v_add_f64 v[46:47], v[58:59], -v[50:51]
	;; [unrolled: 1-line block ×5, first 2 shown]
	v_add_f64 v[6:7], v[6:7], v[46:47]
	v_add_f64 v[46:47], v[50:51], -v[16:17]
	v_add_f64 v[4:5], v[4:5], -v[46:47]
	;; [unrolled: 1-line block ×4, first 2 shown]
	v_add_f64 v[4:5], v[4:5], v[46:47]
	v_add_f64 v[42:43], v[44:45], -v[42:43]
	v_add_f64 v[4:5], v[4:5], v[6:7]
	v_fma_f64 v[2:3], v[2:3], v[14:15], -v[16:17]
	v_add_f64 v[44:45], v[42:43], v[58:59]
	v_add_f64 v[2:3], v[2:3], v[4:5]
	v_ldexp_f64 v[4:5], v[48:49], 2
	v_add_f64 v[6:7], v[44:45], v[4:5]
	v_cmp_gt_f64_e64 s[6:7], 0, v[6:7]
	v_cndmask_b32_e64 v91, 0, v54, s[6:7]
	v_add_f64 v[4:5], v[4:5], v[90:91]
	v_add_f64 v[6:7], v[44:45], v[4:5]
	v_cvt_i32_f64_e32 v9, v[6:7]
	v_cvt_f64_i32_e32 v[6:7], v9
	v_add_f64 v[4:5], v[4:5], -v[6:7]
	v_add_f64 v[42:43], v[44:45], -v[42:43]
	v_add_f64 v[6:7], v[44:45], v[4:5]
	v_add_f64 v[42:43], v[58:59], -v[42:43]
	v_add_f64 v[4:5], v[6:7], -v[4:5]
	v_cmp_le_f64_e64 s[6:7], 0.5, v[6:7]
	v_add_f64 v[2:3], v[42:43], v[2:3]
	v_add_f64 v[4:5], v[44:45], -v[4:5]
	v_cndmask_b32_e64 v91, 0, v55, s[6:7]
	v_add_f64 v[2:3], v[2:3], v[4:5]
	v_add_f64 v[4:5], v[6:7], -v[90:91]
	v_add_f64 v[6:7], v[4:5], v[2:3]
	v_add_f64 v[4:5], v[6:7], -v[4:5]
	v_add_f64 v[2:3], v[2:3], -v[4:5]
	v_mul_f64 v[4:5], v[6:7], s[56:57]
	v_fma_f64 v[14:15], v[6:7], s[56:57], -v[4:5]
	v_fmac_f64_e32 v[14:15], s[58:59], v[6:7]
	v_fmac_f64_e32 v[14:15], s[56:57], v[2:3]
	v_add_f64 v[16:17], v[4:5], v[14:15]
	v_add_f64 v[2:3], v[16:17], -v[4:5]
	v_addc_co_u32_e64 v11, s[8:9], 0, v9, s[6:7]
	v_add_f64 v[42:43], v[14:15], -v[2:3]
.LBB0_65:                               ;   in Loop: Header=BB0_34 Depth=1
	s_andn2_saveexec_b64 s[6:7], s[10:11]
	s_cbranch_execz .LBB0_67
; %bb.66:                               ;   in Loop: Header=BB0_34 Depth=1
	v_mul_f64 v[2:3], |v[0:1]|, s[60:61]
	v_rndne_f64_e32 v[2:3], v[2:3]
	s_mov_b32 s62, s56
	v_fma_f64 v[4:5], v[2:3], s[62:63], |v[0:1]|
	v_mul_f64 v[14:15], v[2:3], s[64:65]
	v_add_f64 v[42:43], v[4:5], v[14:15]
	v_fma_f64 v[6:7], s[64:65], v[2:3], v[4:5]
	s_mov_b32 s8, s64
	s_mov_b32 s9, s59
	v_add_f64 v[4:5], v[4:5], -v[42:43]
	v_fma_f64 v[16:17], s[8:9], v[2:3], v[14:15]
	v_add_f64 v[4:5], v[4:5], v[14:15]
	v_add_f64 v[14:15], v[42:43], -v[6:7]
	v_add_f64 v[4:5], v[14:15], v[4:5]
	v_add_f64 v[4:5], v[4:5], -v[16:17]
	v_fmac_f64_e32 v[4:5], s[66:67], v[2:3]
	v_add_f64 v[16:17], v[6:7], v[4:5]
	v_add_f64 v[6:7], v[16:17], -v[6:7]
	v_add_f64 v[42:43], v[4:5], -v[6:7]
	v_cvt_i32_f64_e32 v11, v[2:3]
.LBB0_67:                               ;   in Loop: Header=BB0_34 Depth=1
	s_or_b64 exec, exec, s[6:7]
	v_mul_f64 v[2:3], v[16:17], v[16:17]
	v_pk_mov_b32 v[44:45], v[24:25], v[24:25] op_sel:[0,1]
	v_mul_f64 v[4:5], v[2:3], 0.5
	v_fmac_f64_e32 v[44:45], s[70:71], v[2:3]
	v_pk_mov_b32 v[46:47], v[26:27], v[26:27] op_sel:[0,1]
	v_add_f64 v[6:7], -v[4:5], 1.0
	v_fmac_f64_e32 v[46:47], v[2:3], v[44:45]
	v_pk_mov_b32 v[44:45], v[28:29], v[28:29] op_sel:[0,1]
	v_add_f64 v[14:15], -v[6:7], 1.0
	v_fmac_f64_e32 v[44:45], v[2:3], v[46:47]
	v_pk_mov_b32 v[46:47], v[30:31], v[30:31] op_sel:[0,1]
	v_add_f64 v[4:5], v[14:15], -v[4:5]
	v_fmac_f64_e32 v[46:47], v[2:3], v[44:45]
	v_pk_mov_b32 v[44:45], v[32:33], v[32:33] op_sel:[0,1]
	v_mul_f64 v[14:15], v[2:3], v[2:3]
	v_fmac_f64_e32 v[44:45], v[2:3], v[46:47]
	v_fma_f64 v[4:5], v[16:17], -v[42:43], v[4:5]
	v_fmac_f64_e32 v[4:5], v[14:15], v[44:45]
	v_add_f64 v[4:5], v[6:7], v[4:5]
	v_pk_mov_b32 v[6:7], v[34:35], v[34:35] op_sel:[0,1]
	v_fmac_f64_e32 v[6:7], s[84:85], v[2:3]
	v_pk_mov_b32 v[14:15], v[36:37], v[36:37] op_sel:[0,1]
	v_fmac_f64_e32 v[14:15], v[2:3], v[6:7]
	;; [unrolled: 2-line block ×4, first 2 shown]
	v_mul_f64 v[6:7], v[16:17], -v[2:3]
	v_mul_f64 v[44:45], v[42:43], 0.5
	v_fmac_f64_e32 v[44:45], v[6:7], v[14:15]
	v_fma_f64 v[2:3], v[2:3], v[44:45], -v[42:43]
	v_fmac_f64_e32 v[2:3], s[80:81], v[6:7]
	v_and_b32_e32 v0, 1, v11
	v_add_f64 v[2:3], v[16:17], -v[2:3]
	v_cmp_eq_u32_e64 s[6:7], 0, v0
	v_cndmask_b32_e64 v0, v4, v2, s[6:7]
	v_cndmask_b32_e64 v2, v5, v3, s[6:7]
	v_lshlrev_b32_e32 v3, 30, v11
	v_xor_b32_e32 v1, v3, v1
	v_and_b32_e32 v1, 0x80000000, v1
	v_xor_b32_e32 v1, v2, v1
	v_readlane_b32 s8, v127, 12
	v_cndmask_b32_e32 v0, 0, v0, vcc
	v_cndmask_b32_e64 v1, v76, -v1, vcc
	v_readlane_b32 s10, v127, 14
	buffer_store_dword v0, off, s[0:3], 0 offset:56
	buffer_store_dword v1, off, s[0:3], 0 offset:60
	v_mad_u64_u32 v[0:1], s[6:7], v8, s10, v[10:11]
	v_cndmask_b32_e64 v1, 0, 1, s[4:5]
	v_sub_u32_e32 v0, v0, v1
	v_ashrrev_i32_e32 v1, 31, v0
	v_readlane_b32 s6, v127, 4
	v_lshlrev_b64 v[0:1], 5, v[0:1]
	v_readlane_b32 s7, v127, 5
	v_add_co_u32_e32 v4, vcc, s6, v0
	v_mov_b32_e32 v0, s7
	v_addc_co_u32_e32 v5, vcc, v0, v1, vcc
	global_load_dwordx4 v[0:3], v[4:5], off offset:16
	s_nop 0
	global_load_dwordx4 v[4:7], v[4:5], off
	v_readlane_b32 s9, v127, 13
	v_readlane_b32 s11, v127, 15
	s_waitcnt vmcnt(1)
	v_mul_f64 v[0:1], v[18:19], v[0:1]
	s_waitcnt vmcnt(0)
	v_mul_f64 v[94:95], v[18:19], v[4:5]
	v_mul_f64 v[96:97], v[18:19], v[6:7]
	v_cmp_lt_i32_e32 vcc, v2, v3
	s_and_saveexec_b64 s[6:7], vcc
	s_cbranch_execz .LBB0_71
; %bb.68:                               ;   in Loop: Header=BB0_34 Depth=1
	v_readlane_b32 s8, v127, 12
	v_readlane_b32 s9, v127, 13
	v_mad_u64_u32 v[4:5], s[8:9], v8, s9, v[2:3]
	v_pk_mov_b32 v[6:7], s[30:31], s[30:31] op_sel:[0,1]
	v_mad_i64_i32 v[14:15], s[8:9], v4, s98, v[6:7]
	s_mov_b64 s[8:9], 0
	v_readlane_b32 s10, v127, 14
	v_readlane_b32 s11, v127, 15
.LBB0_69:                               ;   Parent Loop BB0_34 Depth=1
                                        ; =>  This Inner Loop Header: Depth=2
	global_load_dwordx4 v[4:7], v[14:15], off offset:48
	global_load_dwordx4 v[42:45], v[14:15], off offset:32
	;; [unrolled: 1-line block ×3, first 2 shown]
	global_load_dwordx4 v[58:61], v[14:15], off
	global_load_sshort v9, v[14:15], off offset:64
	v_add_u32_e32 v2, 1, v2
	s_waitcnt vmcnt(1)
	v_add_f64 v[16:17], v[58:59], -v[20:21]
	v_mul_f64 v[50:51], v[60:61], v[60:61]
	v_fmac_f64_e32 v[50:51], v[16:17], v[16:17]
	v_fma_f64 v[58:59], 0, v[16:17], v[60:61]
	v_div_scale_f64 v[62:63], s[10:11], v[50:51], v[50:51], v[58:59]
	v_rcp_f64_e32 v[64:65], v[62:63]
	v_fmac_f64_e32 v[16:17], 0x80000000, v[60:61]
	v_div_scale_f64 v[60:61], s[10:11], v[50:51], v[50:51], v[16:17]
	v_fma_f64 v[66:67], -v[62:63], v[64:65], 1.0
	v_fmac_f64_e32 v[64:65], v[64:65], v[66:67]
	v_fma_f64 v[66:67], -v[62:63], v[64:65], 1.0
	v_fmac_f64_e32 v[64:65], v[64:65], v[66:67]
	v_div_scale_f64 v[66:67], vcc, v[58:59], v[50:51], v[58:59]
	v_mul_f64 v[70:71], v[66:67], v[64:65]
	v_fma_f64 v[62:63], -v[62:63], v[70:71], v[66:67]
	s_waitcnt vmcnt(0)
	v_lshl_add_u32 v9, v9, 4, v53
	v_div_fmas_f64 v[62:63], v[62:63], v[64:65], v[70:71]
	v_div_fixup_f64 v[58:59], v[62:63], v[50:51], v[58:59]
	v_rcp_f64_e32 v[62:63], v[60:61]
	v_fma_f64 v[64:65], -v[60:61], v[62:63], 1.0
	v_fmac_f64_e32 v[62:63], v[62:63], v[64:65]
	v_fma_f64 v[64:65], -v[60:61], v[62:63], 1.0
	v_fmac_f64_e32 v[62:63], v[62:63], v[64:65]
	v_div_scale_f64 v[64:65], vcc, v[16:17], v[50:51], v[16:17]
	v_mul_f64 v[66:67], v[64:65], v[62:63]
	v_fma_f64 v[60:61], -v[60:61], v[66:67], v[64:65]
	s_nop 1
	v_div_fmas_f64 v[60:61], v[60:61], v[62:63], v[66:67]
	v_div_fixup_f64 v[16:17], v[60:61], v[50:51], v[16:17]
	v_mul_f64 v[50:51], v[16:17], 0
	v_fmac_f64_e32 v[50:51], v[18:19], v[58:59]
	v_div_scale_f64 v[60:61], s[10:11], v[22:23], v[22:23], v[50:51]
	v_rcp_f64_e32 v[62:63], v[60:61]
	v_mul_f64 v[58:59], v[58:59], s[24:25]
	v_fmac_f64_e32 v[58:59], v[18:19], v[16:17]
	v_div_scale_f64 v[16:17], s[10:11], v[22:23], v[22:23], v[58:59]
	v_fma_f64 v[64:65], -v[60:61], v[62:63], 1.0
	v_fmac_f64_e32 v[62:63], v[62:63], v[64:65]
	v_fma_f64 v[64:65], -v[60:61], v[62:63], 1.0
	v_fmac_f64_e32 v[62:63], v[62:63], v[64:65]
	v_div_scale_f64 v[64:65], vcc, v[50:51], v[22:23], v[50:51]
	v_mul_f64 v[66:67], v[64:65], v[62:63]
	v_fma_f64 v[60:61], -v[60:61], v[66:67], v[64:65]
	s_nop 1
	v_div_fmas_f64 v[60:61], v[60:61], v[62:63], v[66:67]
	v_div_fixup_f64 v[50:51], v[60:61], v[22:23], v[50:51]
	v_rcp_f64_e32 v[60:61], v[16:17]
	v_fma_f64 v[62:63], -v[16:17], v[60:61], 1.0
	v_fmac_f64_e32 v[60:61], v[60:61], v[62:63]
	v_fma_f64 v[62:63], -v[16:17], v[60:61], 1.0
	v_fmac_f64_e32 v[60:61], v[60:61], v[62:63]
	v_div_scale_f64 v[62:63], vcc, v[58:59], v[22:23], v[58:59]
	v_mul_f64 v[64:65], v[62:63], v[60:61]
	v_fma_f64 v[16:17], -v[16:17], v[64:65], v[62:63]
	s_nop 1
	v_div_fmas_f64 v[16:17], v[16:17], v[60:61], v[64:65]
	v_div_fixup_f64 v[16:17], v[16:17], v[22:23], v[58:59]
	buffer_load_dword v58, v9, s[0:3], 0 offen
	buffer_load_dword v59, v9, s[0:3], 0 offen offset:4
	buffer_load_dword v60, v9, s[0:3], 0 offen offset:8
	;; [unrolled: 1-line block ×3, first 2 shown]
	v_add_co_u32_e32 v14, vcc, 0x48, v14
	v_mul_f64 v[44:45], v[44:45], v[16:17]
	v_mul_f64 v[6:7], v[6:7], v[16:17]
	v_addc_co_u32_e32 v15, vcc, 0, v15, vcc
	v_fma_f64 v[42:43], v[42:43], v[50:51], -v[44:45]
	v_fma_f64 v[4:5], v[4:5], v[50:51], -v[6:7]
	v_cmp_ge_i32_e32 vcc, v2, v3
	v_add_f64 v[96:97], v[96:97], v[42:43]
	v_add_f64 v[0:1], v[0:1], v[4:5]
	s_or_b64 s[8:9], vcc, s[8:9]
	s_waitcnt vmcnt(0)
	v_mul_f64 v[62:63], v[16:17], v[60:61]
	v_mul_f64 v[60:61], v[50:51], v[60:61]
	v_fmac_f64_e32 v[60:61], v[16:17], v[58:59]
	v_fma_f64 v[62:63], v[50:51], v[58:59], -v[62:63]
	v_mul_f64 v[48:49], v[48:49], v[60:61]
	v_fma_f64 v[46:47], v[46:47], v[62:63], -v[48:49]
	v_add_f64 v[94:95], v[94:95], v[46:47]
	s_andn2_b64 exec, exec, s[8:9]
	s_cbranch_execnz .LBB0_69
; %bb.70:                               ;   in Loop: Header=BB0_34 Depth=1
	s_or_b64 exec, exec, s[8:9]
.LBB0_71:                               ;   in Loop: Header=BB0_34 Depth=1
	s_or_b64 exec, exec, s[6:7]
	v_add_f64 v[2:3], v[94:95], -v[96:97]
	s_branch .LBB0_33
.LBB0_72:                               ;   in Loop: Header=BB0_34 Depth=1
                                        ; implicit-def: $vgpr2_vgpr3
                                        ; implicit-def: $vgpr0_vgpr1
                                        ; implicit-def: $vgpr96_vgpr97
                                        ; implicit-def: $vgpr94_vgpr95
	s_cbranch_execz .LBB0_33
; %bb.73:                               ;   in Loop: Header=BB0_34 Depth=1
	global_load_dwordx2 v[0:1], v[12:13], off
                                        ; implicit-def: $vgpr11
                                        ; implicit-def: $vgpr16_vgpr17
                                        ; implicit-def: $vgpr42_vgpr43
	s_waitcnt vmcnt(0)
	v_mul_f64 v[0:1], v[20:21], v[0:1]
	v_add_f64 v[0:1], v[0:1], v[0:1]
	v_cmp_nlt_f64_e64 s[8:9], |v[0:1]|, s[50:51]
	v_trig_preop_f64 v[6:7], |v[0:1]|, 0
	v_trig_preop_f64 v[4:5], |v[0:1]|, 1
	v_ldexp_f64 v[14:15], |v[0:1]|, s94
	v_trig_preop_f64 v[2:3], |v[0:1]|, 2
	v_and_b32_e32 v9, 0x7fffffff, v1
	s_and_saveexec_b64 s[6:7], s[8:9]
	s_xor_b64 s[10:11], exec, s[6:7]
	s_cbranch_execz .LBB0_75
; %bb.74:                               ;   in Loop: Header=BB0_34 Depth=1
	v_cmp_ge_f64_e64 vcc, |v[0:1]|, s[52:53]
	v_cndmask_b32_e32 v17, v9, v15, vcc
	v_cndmask_b32_e32 v16, v0, v14, vcc
	v_mul_f64 v[44:45], v[6:7], v[16:17]
	v_mul_f64 v[42:43], v[4:5], v[16:17]
	v_fma_f64 v[46:47], v[6:7], v[16:17], -v[44:45]
	v_add_f64 v[48:49], v[42:43], v[46:47]
	v_add_f64 v[50:51], v[44:45], v[48:49]
	v_ldexp_f64 v[58:59], v[50:51], -2
	v_fract_f64_e32 v[60:61], v[58:59]
	v_cmp_neq_f64_e64 vcc, |v[58:59]|, s[54:55]
	v_cndmask_b32_e32 v59, 0, v61, vcc
	v_cndmask_b32_e32 v58, 0, v60, vcc
	v_add_f64 v[60:61], v[48:49], -v[42:43]
	v_add_f64 v[46:47], v[46:47], -v[60:61]
	;; [unrolled: 1-line block ×4, first 2 shown]
	v_add_f64 v[46:47], v[46:47], v[60:61]
	v_fma_f64 v[42:43], v[4:5], v[16:17], -v[42:43]
	v_mul_f64 v[60:61], v[2:3], v[16:17]
	v_add_f64 v[62:63], v[60:61], v[42:43]
	v_add_f64 v[86:87], v[62:63], v[46:47]
	v_add_f64 v[44:45], v[50:51], -v[44:45]
	v_add_f64 v[50:51], v[86:87], -v[62:63]
	v_add_f64 v[46:47], v[46:47], -v[50:51]
	v_add_f64 v[50:51], v[86:87], -v[50:51]
	v_add_f64 v[50:51], v[62:63], -v[50:51]
	v_add_f64 v[46:47], v[46:47], v[50:51]
	v_add_f64 v[50:51], v[62:63], -v[60:61]
	v_add_f64 v[42:43], v[42:43], -v[50:51]
	;; [unrolled: 1-line block ×5, first 2 shown]
	v_add_f64 v[48:49], v[44:45], v[86:87]
	v_add_f64 v[42:43], v[42:43], v[50:51]
	v_add_f64 v[44:45], v[48:49], -v[44:45]
	v_add_f64 v[42:43], v[42:43], v[46:47]
	v_fma_f64 v[16:17], v[2:3], v[16:17], -v[60:61]
	v_add_f64 v[44:45], v[86:87], -v[44:45]
	v_add_f64 v[16:17], v[16:17], v[42:43]
	v_ldexp_f64 v[42:43], v[58:59], 2
	v_add_f64 v[16:17], v[44:45], v[16:17]
	v_add_f64 v[44:45], v[48:49], v[42:43]
	v_cmp_gt_f64_e32 vcc, 0, v[44:45]
	v_cndmask_b32_e32 v91, 0, v54, vcc
	v_add_f64 v[42:43], v[42:43], v[90:91]
	v_add_f64 v[44:45], v[48:49], v[42:43]
	v_cvt_i32_f64_e32 v11, v[44:45]
	v_cvt_f64_i32_e32 v[44:45], v11
	v_add_f64 v[42:43], v[42:43], -v[44:45]
	v_add_f64 v[44:45], v[48:49], v[42:43]
	v_add_f64 v[42:43], v[44:45], -v[42:43]
	v_cmp_le_f64_e32 vcc, 0.5, v[44:45]
	v_add_f64 v[42:43], v[48:49], -v[42:43]
	v_cndmask_b32_e32 v91, 0, v55, vcc
	v_add_f64 v[16:17], v[16:17], v[42:43]
	v_add_f64 v[42:43], v[44:45], -v[90:91]
	v_add_f64 v[44:45], v[42:43], v[16:17]
	v_add_f64 v[42:43], v[44:45], -v[42:43]
	v_add_f64 v[16:17], v[16:17], -v[42:43]
	v_mul_f64 v[42:43], v[44:45], s[56:57]
	v_fma_f64 v[46:47], v[44:45], s[56:57], -v[42:43]
	v_fmac_f64_e32 v[46:47], s[58:59], v[44:45]
	v_fmac_f64_e32 v[46:47], s[56:57], v[16:17]
	v_add_f64 v[16:17], v[42:43], v[46:47]
	v_add_f64 v[42:43], v[16:17], -v[42:43]
	v_addc_co_u32_e64 v11, s[6:7], 0, v11, vcc
	v_add_f64 v[42:43], v[46:47], -v[42:43]
.LBB0_75:                               ;   in Loop: Header=BB0_34 Depth=1
	s_andn2_saveexec_b64 s[6:7], s[10:11]
	s_cbranch_execz .LBB0_77
; %bb.76:                               ;   in Loop: Header=BB0_34 Depth=1
	v_mul_f64 v[16:17], |v[0:1]|, s[60:61]
	v_rndne_f64_e32 v[44:45], v[16:17]
	s_mov_b32 s62, s56
	v_fma_f64 v[16:17], v[44:45], s[62:63], |v[0:1]|
	v_mul_f64 v[46:47], v[44:45], s[64:65]
	v_add_f64 v[50:51], v[16:17], v[46:47]
	v_fma_f64 v[42:43], s[64:65], v[44:45], v[16:17]
	s_mov_b32 s10, s64
	s_mov_b32 s11, s59
	v_add_f64 v[16:17], v[16:17], -v[50:51]
	v_fma_f64 v[48:49], s[10:11], v[44:45], v[46:47]
	v_add_f64 v[16:17], v[16:17], v[46:47]
	v_add_f64 v[46:47], v[50:51], -v[42:43]
	v_add_f64 v[16:17], v[46:47], v[16:17]
	v_add_f64 v[46:47], v[16:17], -v[48:49]
	v_fmac_f64_e32 v[46:47], s[66:67], v[44:45]
	v_add_f64 v[16:17], v[42:43], v[46:47]
	v_add_f64 v[42:43], v[16:17], -v[42:43]
	v_add_f64 v[42:43], v[46:47], -v[42:43]
	v_cvt_i32_f64_e32 v11, v[44:45]
.LBB0_77:                               ;   in Loop: Header=BB0_34 Depth=1
	s_or_b64 exec, exec, s[6:7]
	v_mul_f64 v[44:45], v[16:17], v[16:17]
	v_pk_mov_b32 v[58:59], v[24:25], v[24:25] op_sel:[0,1]
	v_mul_f64 v[46:47], v[44:45], 0.5
	v_fmac_f64_e32 v[58:59], s[70:71], v[44:45]
	v_pk_mov_b32 v[60:61], v[26:27], v[26:27] op_sel:[0,1]
	v_add_f64 v[48:49], -v[46:47], 1.0
	v_fmac_f64_e32 v[60:61], v[44:45], v[58:59]
	v_pk_mov_b32 v[58:59], v[28:29], v[28:29] op_sel:[0,1]
	v_add_f64 v[50:51], -v[48:49], 1.0
	v_fmac_f64_e32 v[58:59], v[44:45], v[60:61]
	v_pk_mov_b32 v[60:61], v[30:31], v[30:31] op_sel:[0,1]
	v_add_f64 v[46:47], v[50:51], -v[46:47]
	v_fmac_f64_e32 v[60:61], v[44:45], v[58:59]
	v_pk_mov_b32 v[58:59], v[32:33], v[32:33] op_sel:[0,1]
	v_mul_f64 v[50:51], v[44:45], v[44:45]
	v_fmac_f64_e32 v[58:59], v[44:45], v[60:61]
	v_fma_f64 v[46:47], v[16:17], -v[42:43], v[46:47]
	v_fmac_f64_e32 v[46:47], v[50:51], v[58:59]
	v_add_f64 v[46:47], v[48:49], v[46:47]
	v_pk_mov_b32 v[48:49], v[34:35], v[34:35] op_sel:[0,1]
	v_fmac_f64_e32 v[48:49], s[84:85], v[44:45]
	v_pk_mov_b32 v[50:51], v[36:37], v[36:37] op_sel:[0,1]
	v_fmac_f64_e32 v[50:51], v[44:45], v[48:49]
	;; [unrolled: 2-line block ×4, first 2 shown]
	v_mul_f64 v[48:49], v[16:17], -v[44:45]
	v_mul_f64 v[58:59], v[42:43], 0.5
	v_fmac_f64_e32 v[58:59], v[48:49], v[50:51]
	v_fma_f64 v[42:43], v[44:45], v[58:59], -v[42:43]
	v_fmac_f64_e32 v[42:43], s[80:81], v[48:49]
	v_add_f64 v[16:17], v[16:17], -v[42:43]
	v_and_b32_e32 v42, 1, v11
	v_xor_b32_e32 v17, 0x80000000, v17
	v_cmp_eq_u32_e32 vcc, 0, v42
	v_lshlrev_b32_e32 v11, 30, v11
	v_cndmask_b32_e32 v17, v17, v47, vcc
	v_and_b32_e32 v11, 0x80000000, v11
	v_cndmask_b32_e32 v16, v16, v46, vcc
	v_xor_b32_e32 v11, v17, v11
	v_cmp_class_f64_e64 vcc, v[0:1], s95
	v_cndmask_b32_e32 v11, v56, v11, vcc
	v_cndmask_b32_e32 v16, 0, v16, vcc
	buffer_store_dword v16, off, s[0:3], 0
	buffer_store_dword v11, off, s[0:3], 0 offset:4
                                        ; implicit-def: $vgpr11
                                        ; implicit-def: $vgpr16_vgpr17
                                        ; implicit-def: $vgpr42_vgpr43
	s_and_saveexec_b64 s[6:7], s[8:9]
	s_xor_b64 s[10:11], exec, s[6:7]
	s_cbranch_execz .LBB0_79
; %bb.78:                               ;   in Loop: Header=BB0_34 Depth=1
	v_cmp_ge_f64_e64 s[6:7], |v[0:1]|, s[52:53]
	v_cndmask_b32_e64 v15, v9, v15, s[6:7]
	v_cndmask_b32_e64 v14, v0, v14, s[6:7]
	v_mul_f64 v[42:43], v[6:7], v[14:15]
	v_mul_f64 v[16:17], v[4:5], v[14:15]
	v_fma_f64 v[6:7], v[6:7], v[14:15], -v[42:43]
	v_add_f64 v[44:45], v[16:17], v[6:7]
	v_add_f64 v[46:47], v[42:43], v[44:45]
	v_ldexp_f64 v[48:49], v[46:47], -2
	v_fract_f64_e32 v[50:51], v[48:49]
	v_cmp_neq_f64_e64 s[6:7], |v[48:49]|, s[54:55]
	v_cndmask_b32_e64 v49, 0, v51, s[6:7]
	v_cndmask_b32_e64 v48, 0, v50, s[6:7]
	v_add_f64 v[50:51], v[44:45], -v[16:17]
	v_add_f64 v[6:7], v[6:7], -v[50:51]
	;; [unrolled: 1-line block ×4, first 2 shown]
	v_fma_f64 v[4:5], v[4:5], v[14:15], -v[16:17]
	v_mul_f64 v[16:17], v[2:3], v[14:15]
	v_add_f64 v[6:7], v[6:7], v[50:51]
	v_add_f64 v[50:51], v[16:17], v[4:5]
	;; [unrolled: 1-line block ×3, first 2 shown]
	v_add_f64 v[42:43], v[46:47], -v[42:43]
	v_add_f64 v[46:47], v[58:59], -v[50:51]
	;; [unrolled: 1-line block ×5, first 2 shown]
	v_add_f64 v[6:7], v[6:7], v[46:47]
	v_add_f64 v[46:47], v[50:51], -v[16:17]
	v_add_f64 v[4:5], v[4:5], -v[46:47]
	;; [unrolled: 1-line block ×4, first 2 shown]
	v_add_f64 v[4:5], v[4:5], v[46:47]
	v_add_f64 v[42:43], v[44:45], -v[42:43]
	v_add_f64 v[4:5], v[4:5], v[6:7]
	v_fma_f64 v[2:3], v[2:3], v[14:15], -v[16:17]
	v_add_f64 v[44:45], v[42:43], v[58:59]
	v_add_f64 v[2:3], v[2:3], v[4:5]
	v_ldexp_f64 v[4:5], v[48:49], 2
	v_add_f64 v[6:7], v[44:45], v[4:5]
	v_cmp_gt_f64_e64 s[6:7], 0, v[6:7]
	v_cndmask_b32_e64 v91, 0, v54, s[6:7]
	v_add_f64 v[4:5], v[4:5], v[90:91]
	v_add_f64 v[6:7], v[44:45], v[4:5]
	v_cvt_i32_f64_e32 v9, v[6:7]
	v_cvt_f64_i32_e32 v[6:7], v9
	v_add_f64 v[4:5], v[4:5], -v[6:7]
	v_add_f64 v[42:43], v[44:45], -v[42:43]
	v_add_f64 v[6:7], v[44:45], v[4:5]
	v_add_f64 v[42:43], v[58:59], -v[42:43]
	v_add_f64 v[4:5], v[6:7], -v[4:5]
	v_cmp_le_f64_e64 s[6:7], 0.5, v[6:7]
	v_add_f64 v[2:3], v[42:43], v[2:3]
	v_add_f64 v[4:5], v[44:45], -v[4:5]
	v_cndmask_b32_e64 v91, 0, v55, s[6:7]
	v_add_f64 v[2:3], v[2:3], v[4:5]
	v_add_f64 v[4:5], v[6:7], -v[90:91]
	v_add_f64 v[6:7], v[4:5], v[2:3]
	v_add_f64 v[4:5], v[6:7], -v[4:5]
	v_add_f64 v[2:3], v[2:3], -v[4:5]
	v_mul_f64 v[4:5], v[6:7], s[56:57]
	v_fma_f64 v[14:15], v[6:7], s[56:57], -v[4:5]
	v_fmac_f64_e32 v[14:15], s[58:59], v[6:7]
	v_fmac_f64_e32 v[14:15], s[56:57], v[2:3]
	v_add_f64 v[16:17], v[4:5], v[14:15]
	v_add_f64 v[2:3], v[16:17], -v[4:5]
	v_addc_co_u32_e64 v11, s[8:9], 0, v9, s[6:7]
	v_add_f64 v[42:43], v[14:15], -v[2:3]
.LBB0_79:                               ;   in Loop: Header=BB0_34 Depth=1
	s_andn2_saveexec_b64 s[6:7], s[10:11]
	s_cbranch_execz .LBB0_81
; %bb.80:                               ;   in Loop: Header=BB0_34 Depth=1
	v_mul_f64 v[2:3], |v[0:1]|, s[60:61]
	v_rndne_f64_e32 v[2:3], v[2:3]
	s_mov_b32 s62, s56
	v_fma_f64 v[4:5], v[2:3], s[62:63], |v[0:1]|
	v_mul_f64 v[14:15], v[2:3], s[64:65]
	v_add_f64 v[42:43], v[4:5], v[14:15]
	v_fma_f64 v[6:7], s[64:65], v[2:3], v[4:5]
	s_mov_b32 s8, s64
	s_mov_b32 s9, s59
	v_add_f64 v[4:5], v[4:5], -v[42:43]
	v_fma_f64 v[16:17], s[8:9], v[2:3], v[14:15]
	v_add_f64 v[4:5], v[4:5], v[14:15]
	v_add_f64 v[14:15], v[42:43], -v[6:7]
	v_add_f64 v[4:5], v[14:15], v[4:5]
	v_add_f64 v[4:5], v[4:5], -v[16:17]
	v_fmac_f64_e32 v[4:5], s[66:67], v[2:3]
	v_add_f64 v[16:17], v[6:7], v[4:5]
	v_add_f64 v[6:7], v[16:17], -v[6:7]
	v_add_f64 v[42:43], v[4:5], -v[6:7]
	v_cvt_i32_f64_e32 v11, v[2:3]
.LBB0_81:                               ;   in Loop: Header=BB0_34 Depth=1
	s_or_b64 exec, exec, s[6:7]
	v_mul_f64 v[2:3], v[16:17], v[16:17]
	v_pk_mov_b32 v[44:45], v[24:25], v[24:25] op_sel:[0,1]
	v_mul_f64 v[4:5], v[2:3], 0.5
	v_fmac_f64_e32 v[44:45], s[70:71], v[2:3]
	v_pk_mov_b32 v[46:47], v[26:27], v[26:27] op_sel:[0,1]
	v_add_f64 v[6:7], -v[4:5], 1.0
	v_fmac_f64_e32 v[46:47], v[2:3], v[44:45]
	v_pk_mov_b32 v[44:45], v[28:29], v[28:29] op_sel:[0,1]
	v_add_f64 v[14:15], -v[6:7], 1.0
	v_fmac_f64_e32 v[44:45], v[2:3], v[46:47]
	v_pk_mov_b32 v[46:47], v[30:31], v[30:31] op_sel:[0,1]
	v_add_f64 v[4:5], v[14:15], -v[4:5]
	v_fmac_f64_e32 v[46:47], v[2:3], v[44:45]
	v_pk_mov_b32 v[44:45], v[32:33], v[32:33] op_sel:[0,1]
	v_mul_f64 v[14:15], v[2:3], v[2:3]
	v_fmac_f64_e32 v[44:45], v[2:3], v[46:47]
	v_fma_f64 v[4:5], v[16:17], -v[42:43], v[4:5]
	v_fmac_f64_e32 v[4:5], v[14:15], v[44:45]
	v_add_f64 v[4:5], v[6:7], v[4:5]
	v_pk_mov_b32 v[6:7], v[34:35], v[34:35] op_sel:[0,1]
	v_fmac_f64_e32 v[6:7], s[84:85], v[2:3]
	v_pk_mov_b32 v[14:15], v[36:37], v[36:37] op_sel:[0,1]
	v_fmac_f64_e32 v[14:15], v[2:3], v[6:7]
	;; [unrolled: 2-line block ×4, first 2 shown]
	v_mul_f64 v[6:7], v[16:17], -v[2:3]
	v_mul_f64 v[44:45], v[42:43], 0.5
	v_fmac_f64_e32 v[44:45], v[6:7], v[14:15]
	v_fma_f64 v[2:3], v[2:3], v[44:45], -v[42:43]
	v_fmac_f64_e32 v[2:3], s[80:81], v[6:7]
	v_and_b32_e32 v0, 1, v11
	v_add_f64 v[2:3], v[16:17], -v[2:3]
	v_cmp_eq_u32_e64 s[6:7], 0, v0
	v_cndmask_b32_e64 v0, v4, v2, s[6:7]
	v_cndmask_b32_e64 v2, v5, v3, s[6:7]
	v_lshlrev_b32_e32 v3, 30, v11
	v_xor_b32_e32 v1, v3, v1
	v_and_b32_e32 v1, 0x80000000, v1
	v_xor_b32_e32 v1, v2, v1
	v_cndmask_b32_e32 v0, 0, v0, vcc
	v_cndmask_b32_e64 v1, v76, -v1, vcc
	buffer_store_dword v0, off, s[0:3], 0 offset:8
	buffer_store_dword v1, off, s[0:3], 0 offset:12
	global_load_dwordx2 v[0:1], v[12:13], off offset:8
                                        ; implicit-def: $vgpr11
	s_waitcnt vmcnt(0)
	v_mul_f64 v[2:3], v[20:21], v[0:1]
	v_and_b32_e32 v5, 0x7fffffff, v3
	v_mov_b32_e32 v4, v2
	v_div_scale_f64 v[6:7], s[8:9], v[4:5], v[4:5], 1.0
	v_rcp_f64_e32 v[14:15], v[6:7]
	v_cmp_gt_f64_e64 s[6:7], |v[2:3]|, 1.0
	s_mov_b32 s8, 0xb5e68a13
	s_mov_b32 s9, 0x3eeba404
	v_fma_f64 v[16:17], -v[6:7], v[14:15], 1.0
	v_fmac_f64_e32 v[14:15], v[14:15], v[16:17]
	v_fma_f64 v[16:17], -v[6:7], v[14:15], 1.0
	v_fmac_f64_e32 v[14:15], v[14:15], v[16:17]
	v_div_scale_f64 v[16:17], vcc, 1.0, v[4:5], 1.0
	v_mul_f64 v[42:43], v[16:17], v[14:15]
	v_fma_f64 v[6:7], -v[6:7], v[42:43], v[16:17]
	s_nop 1
	v_div_fmas_f64 v[6:7], v[6:7], v[14:15], v[42:43]
	buffer_load_dword v14, off, s[0:3], 0 offset:64 ; 4-byte Folded Reload
	buffer_load_dword v15, off, s[0:3], 0 offset:68 ; 4-byte Folded Reload
	;; [unrolled: 1-line block ×4, first 2 shown]
	v_div_fixup_f64 v[6:7], v[6:7], |v[2:3]|, 1.0
	v_cndmask_b32_e64 v5, v5, v7, s[6:7]
	v_cndmask_b32_e64 v4, v4, v6, s[6:7]
	v_mul_f64 v[6:7], v[4:5], v[4:5]
	s_waitcnt vmcnt(2)
	v_fmac_f64_e32 v[14:15], s[8:9], v[6:7]
	s_waitcnt vmcnt(0)
	v_fmac_f64_e32 v[16:17], v[6:7], v[14:15]
	buffer_load_dword v14, off, s[0:3], 0 offset:80 ; 4-byte Folded Reload
	buffer_load_dword v15, off, s[0:3], 0 offset:84 ; 4-byte Folded Reload
	s_mov_b32 s8, 0x336a0500
	s_mov_b32 s9, 0x3fedd9ad
	s_waitcnt vmcnt(0)
	v_fmac_f64_e32 v[14:15], v[6:7], v[16:17]
	buffer_load_dword v16, off, s[0:3], 0 offset:88 ; 4-byte Folded Reload
	buffer_load_dword v17, off, s[0:3], 0 offset:92 ; 4-byte Folded Reload
	s_waitcnt vmcnt(0)
	v_fmac_f64_e32 v[16:17], v[6:7], v[14:15]
	buffer_load_dword v14, off, s[0:3], 0 offset:96 ; 4-byte Folded Reload
	buffer_load_dword v15, off, s[0:3], 0 offset:100 ; 4-byte Folded Reload
	;; [unrolled: 4-line block ×13, first 2 shown]
	buffer_load_dword v42, off, s[0:3], 0 offset:192 ; 4-byte Folded Reload
	buffer_load_dword v43, off, s[0:3], 0 offset:196 ; 4-byte Folded Reload
	s_waitcnt vmcnt(2)
	v_fmac_f64_e32 v[16:17], v[6:7], v[14:15]
	buffer_load_dword v14, off, s[0:3], 0 offset:200 ; 4-byte Folded Reload
	buffer_load_dword v15, off, s[0:3], 0 offset:204 ; 4-byte Folded Reload
	s_waitcnt vmcnt(2)
	v_fmac_f64_e32 v[42:43], v[6:7], v[16:17]
	v_pk_mov_b32 v[16:17], v[82:83], v[82:83] op_sel:[0,1]
	s_waitcnt vmcnt(0)
	v_fmac_f64_e32 v[14:15], v[6:7], v[42:43]
	v_fmac_f64_e32 v[16:17], v[6:7], v[14:15]
	v_mul_f64 v[6:7], v[6:7], v[16:17]
	v_fmac_f64_e32 v[4:5], v[4:5], v[6:7]
	buffer_load_dword v6, off, s[0:3], 0 offset:208 ; 4-byte Folded Reload
	buffer_load_dword v7, off, s[0:3], 0 offset:212 ; 4-byte Folded Reload
                                        ; implicit-def: $vgpr16_vgpr17
                                        ; implicit-def: $vgpr42_vgpr43
	s_waitcnt vmcnt(0)
	v_fma_f64 v[6:7], s[8:9], v[6:7], -v[4:5]
	v_cndmask_b32_e64 v2, v4, v6, s[6:7]
	v_cndmask_b32_e64 v4, v5, v7, s[6:7]
	v_bfi_b32 v3, s99, v4, v3
	v_fmac_f64_e32 v[2:3], v[20:21], v[0:1]
	v_add_f64 v[0:1], v[2:3], v[2:3]
	v_cmp_nlt_f64_e64 s[8:9], |v[0:1]|, s[50:51]
	v_trig_preop_f64 v[6:7], |v[0:1]|, 0
	v_trig_preop_f64 v[4:5], |v[0:1]|, 1
	v_ldexp_f64 v[14:15], |v[0:1]|, s94
	v_trig_preop_f64 v[2:3], |v[0:1]|, 2
	v_and_b32_e32 v9, 0x7fffffff, v1
	s_and_saveexec_b64 s[6:7], s[8:9]
	s_xor_b64 s[10:11], exec, s[6:7]
	s_cbranch_execz .LBB0_83
; %bb.82:                               ;   in Loop: Header=BB0_34 Depth=1
	v_cmp_ge_f64_e64 vcc, |v[0:1]|, s[52:53]
	v_cndmask_b32_e32 v17, v9, v15, vcc
	v_cndmask_b32_e32 v16, v0, v14, vcc
	v_mul_f64 v[44:45], v[6:7], v[16:17]
	v_mul_f64 v[42:43], v[4:5], v[16:17]
	v_fma_f64 v[46:47], v[6:7], v[16:17], -v[44:45]
	v_add_f64 v[48:49], v[42:43], v[46:47]
	v_add_f64 v[50:51], v[44:45], v[48:49]
	v_ldexp_f64 v[58:59], v[50:51], -2
	v_fract_f64_e32 v[60:61], v[58:59]
	v_cmp_neq_f64_e64 vcc, |v[58:59]|, s[54:55]
	v_cndmask_b32_e32 v59, 0, v61, vcc
	v_cndmask_b32_e32 v58, 0, v60, vcc
	v_add_f64 v[60:61], v[48:49], -v[42:43]
	v_add_f64 v[46:47], v[46:47], -v[60:61]
	;; [unrolled: 1-line block ×4, first 2 shown]
	v_add_f64 v[46:47], v[46:47], v[60:61]
	v_fma_f64 v[42:43], v[4:5], v[16:17], -v[42:43]
	v_mul_f64 v[60:61], v[2:3], v[16:17]
	v_add_f64 v[62:63], v[60:61], v[42:43]
	v_add_f64 v[86:87], v[62:63], v[46:47]
	v_add_f64 v[44:45], v[50:51], -v[44:45]
	v_add_f64 v[50:51], v[86:87], -v[62:63]
	;; [unrolled: 1-line block ×5, first 2 shown]
	v_add_f64 v[46:47], v[46:47], v[50:51]
	v_add_f64 v[50:51], v[62:63], -v[60:61]
	v_add_f64 v[42:43], v[42:43], -v[50:51]
	;; [unrolled: 1-line block ×5, first 2 shown]
	v_add_f64 v[48:49], v[44:45], v[86:87]
	v_add_f64 v[42:43], v[42:43], v[50:51]
	v_add_f64 v[44:45], v[48:49], -v[44:45]
	v_add_f64 v[42:43], v[42:43], v[46:47]
	v_fma_f64 v[16:17], v[2:3], v[16:17], -v[60:61]
	v_add_f64 v[44:45], v[86:87], -v[44:45]
	v_add_f64 v[16:17], v[16:17], v[42:43]
	v_ldexp_f64 v[42:43], v[58:59], 2
	v_add_f64 v[16:17], v[44:45], v[16:17]
	v_add_f64 v[44:45], v[48:49], v[42:43]
	v_cmp_gt_f64_e32 vcc, 0, v[44:45]
	v_cndmask_b32_e32 v91, 0, v54, vcc
	v_add_f64 v[42:43], v[42:43], v[90:91]
	v_add_f64 v[44:45], v[48:49], v[42:43]
	v_cvt_i32_f64_e32 v11, v[44:45]
	v_cvt_f64_i32_e32 v[44:45], v11
	v_add_f64 v[42:43], v[42:43], -v[44:45]
	v_add_f64 v[44:45], v[48:49], v[42:43]
	v_add_f64 v[42:43], v[44:45], -v[42:43]
	v_cmp_le_f64_e32 vcc, 0.5, v[44:45]
	v_add_f64 v[42:43], v[48:49], -v[42:43]
	v_cndmask_b32_e32 v91, 0, v55, vcc
	v_add_f64 v[16:17], v[16:17], v[42:43]
	v_add_f64 v[42:43], v[44:45], -v[90:91]
	v_add_f64 v[44:45], v[42:43], v[16:17]
	v_add_f64 v[42:43], v[44:45], -v[42:43]
	v_add_f64 v[16:17], v[16:17], -v[42:43]
	v_mul_f64 v[42:43], v[44:45], s[56:57]
	v_fma_f64 v[46:47], v[44:45], s[56:57], -v[42:43]
	v_fmac_f64_e32 v[46:47], s[58:59], v[44:45]
	v_fmac_f64_e32 v[46:47], s[56:57], v[16:17]
	v_add_f64 v[16:17], v[42:43], v[46:47]
	v_add_f64 v[42:43], v[16:17], -v[42:43]
	v_addc_co_u32_e64 v11, s[6:7], 0, v11, vcc
	v_add_f64 v[42:43], v[46:47], -v[42:43]
.LBB0_83:                               ;   in Loop: Header=BB0_34 Depth=1
	s_andn2_saveexec_b64 s[6:7], s[10:11]
	s_cbranch_execz .LBB0_85
; %bb.84:                               ;   in Loop: Header=BB0_34 Depth=1
	v_mul_f64 v[16:17], |v[0:1]|, s[60:61]
	v_rndne_f64_e32 v[44:45], v[16:17]
	s_mov_b32 s62, s56
	v_fma_f64 v[16:17], v[44:45], s[62:63], |v[0:1]|
	v_mul_f64 v[46:47], v[44:45], s[64:65]
	v_add_f64 v[50:51], v[16:17], v[46:47]
	v_fma_f64 v[42:43], s[64:65], v[44:45], v[16:17]
	s_mov_b32 s10, s64
	s_mov_b32 s11, s59
	v_add_f64 v[16:17], v[16:17], -v[50:51]
	v_fma_f64 v[48:49], s[10:11], v[44:45], v[46:47]
	v_add_f64 v[16:17], v[16:17], v[46:47]
	v_add_f64 v[46:47], v[50:51], -v[42:43]
	v_add_f64 v[16:17], v[46:47], v[16:17]
	v_add_f64 v[46:47], v[16:17], -v[48:49]
	v_fmac_f64_e32 v[46:47], s[66:67], v[44:45]
	v_add_f64 v[16:17], v[42:43], v[46:47]
	v_add_f64 v[42:43], v[16:17], -v[42:43]
	v_add_f64 v[42:43], v[46:47], -v[42:43]
	v_cvt_i32_f64_e32 v11, v[44:45]
.LBB0_85:                               ;   in Loop: Header=BB0_34 Depth=1
	s_or_b64 exec, exec, s[6:7]
	v_mul_f64 v[44:45], v[16:17], v[16:17]
	v_pk_mov_b32 v[58:59], v[24:25], v[24:25] op_sel:[0,1]
	v_mul_f64 v[46:47], v[44:45], 0.5
	v_fmac_f64_e32 v[58:59], s[70:71], v[44:45]
	v_pk_mov_b32 v[60:61], v[26:27], v[26:27] op_sel:[0,1]
	v_add_f64 v[48:49], -v[46:47], 1.0
	v_fmac_f64_e32 v[60:61], v[44:45], v[58:59]
	v_pk_mov_b32 v[58:59], v[28:29], v[28:29] op_sel:[0,1]
	v_add_f64 v[50:51], -v[48:49], 1.0
	v_fmac_f64_e32 v[58:59], v[44:45], v[60:61]
	v_pk_mov_b32 v[60:61], v[30:31], v[30:31] op_sel:[0,1]
	v_add_f64 v[46:47], v[50:51], -v[46:47]
	v_fmac_f64_e32 v[60:61], v[44:45], v[58:59]
	v_pk_mov_b32 v[58:59], v[32:33], v[32:33] op_sel:[0,1]
	v_mul_f64 v[50:51], v[44:45], v[44:45]
	v_fmac_f64_e32 v[58:59], v[44:45], v[60:61]
	v_fma_f64 v[46:47], v[16:17], -v[42:43], v[46:47]
	v_fmac_f64_e32 v[46:47], v[50:51], v[58:59]
	v_add_f64 v[46:47], v[48:49], v[46:47]
	v_pk_mov_b32 v[48:49], v[34:35], v[34:35] op_sel:[0,1]
	v_fmac_f64_e32 v[48:49], s[84:85], v[44:45]
	v_pk_mov_b32 v[50:51], v[36:37], v[36:37] op_sel:[0,1]
	v_fmac_f64_e32 v[50:51], v[44:45], v[48:49]
	;; [unrolled: 2-line block ×4, first 2 shown]
	v_mul_f64 v[48:49], v[16:17], -v[44:45]
	v_mul_f64 v[58:59], v[42:43], 0.5
	v_fmac_f64_e32 v[58:59], v[48:49], v[50:51]
	v_fma_f64 v[42:43], v[44:45], v[58:59], -v[42:43]
	v_fmac_f64_e32 v[42:43], s[80:81], v[48:49]
	v_add_f64 v[16:17], v[16:17], -v[42:43]
	v_and_b32_e32 v42, 1, v11
	v_xor_b32_e32 v17, 0x80000000, v17
	v_cmp_eq_u32_e32 vcc, 0, v42
	v_lshlrev_b32_e32 v11, 30, v11
	v_cndmask_b32_e32 v17, v17, v47, vcc
	v_and_b32_e32 v11, 0x80000000, v11
	v_cndmask_b32_e32 v16, v16, v46, vcc
	v_xor_b32_e32 v11, v17, v11
	v_cmp_class_f64_e64 vcc, v[0:1], s95
	v_cndmask_b32_e32 v11, v56, v11, vcc
	v_cndmask_b32_e32 v16, 0, v16, vcc
	buffer_store_dword v16, off, s[0:3], 0 offset:16
	buffer_store_dword v11, off, s[0:3], 0 offset:20
                                        ; implicit-def: $vgpr11
                                        ; implicit-def: $vgpr16_vgpr17
                                        ; implicit-def: $vgpr42_vgpr43
	s_and_saveexec_b64 s[6:7], s[8:9]
	s_xor_b64 s[10:11], exec, s[6:7]
	s_cbranch_execz .LBB0_87
; %bb.86:                               ;   in Loop: Header=BB0_34 Depth=1
	v_cmp_ge_f64_e64 s[6:7], |v[0:1]|, s[52:53]
	v_cndmask_b32_e64 v15, v9, v15, s[6:7]
	v_cndmask_b32_e64 v14, v0, v14, s[6:7]
	v_mul_f64 v[42:43], v[6:7], v[14:15]
	v_mul_f64 v[16:17], v[4:5], v[14:15]
	v_fma_f64 v[6:7], v[6:7], v[14:15], -v[42:43]
	v_add_f64 v[44:45], v[16:17], v[6:7]
	v_add_f64 v[46:47], v[42:43], v[44:45]
	v_ldexp_f64 v[48:49], v[46:47], -2
	v_fract_f64_e32 v[50:51], v[48:49]
	v_cmp_neq_f64_e64 s[6:7], |v[48:49]|, s[54:55]
	v_cndmask_b32_e64 v49, 0, v51, s[6:7]
	v_cndmask_b32_e64 v48, 0, v50, s[6:7]
	v_add_f64 v[50:51], v[44:45], -v[16:17]
	v_add_f64 v[6:7], v[6:7], -v[50:51]
	;; [unrolled: 1-line block ×4, first 2 shown]
	v_fma_f64 v[4:5], v[4:5], v[14:15], -v[16:17]
	v_mul_f64 v[16:17], v[2:3], v[14:15]
	v_add_f64 v[6:7], v[6:7], v[50:51]
	v_add_f64 v[50:51], v[16:17], v[4:5]
	;; [unrolled: 1-line block ×3, first 2 shown]
	v_add_f64 v[42:43], v[46:47], -v[42:43]
	v_add_f64 v[46:47], v[58:59], -v[50:51]
	;; [unrolled: 1-line block ×5, first 2 shown]
	v_add_f64 v[6:7], v[6:7], v[46:47]
	v_add_f64 v[46:47], v[50:51], -v[16:17]
	v_add_f64 v[4:5], v[4:5], -v[46:47]
	;; [unrolled: 1-line block ×4, first 2 shown]
	v_add_f64 v[4:5], v[4:5], v[46:47]
	v_add_f64 v[42:43], v[44:45], -v[42:43]
	v_add_f64 v[4:5], v[4:5], v[6:7]
	v_fma_f64 v[2:3], v[2:3], v[14:15], -v[16:17]
	v_add_f64 v[44:45], v[42:43], v[58:59]
	v_add_f64 v[2:3], v[2:3], v[4:5]
	v_ldexp_f64 v[4:5], v[48:49], 2
	v_add_f64 v[6:7], v[44:45], v[4:5]
	v_cmp_gt_f64_e64 s[6:7], 0, v[6:7]
	v_cndmask_b32_e64 v91, 0, v54, s[6:7]
	v_add_f64 v[4:5], v[4:5], v[90:91]
	v_add_f64 v[6:7], v[44:45], v[4:5]
	v_cvt_i32_f64_e32 v9, v[6:7]
	v_cvt_f64_i32_e32 v[6:7], v9
	v_add_f64 v[4:5], v[4:5], -v[6:7]
	v_add_f64 v[42:43], v[44:45], -v[42:43]
	v_add_f64 v[6:7], v[44:45], v[4:5]
	v_add_f64 v[42:43], v[58:59], -v[42:43]
	v_add_f64 v[4:5], v[6:7], -v[4:5]
	v_cmp_le_f64_e64 s[6:7], 0.5, v[6:7]
	v_add_f64 v[2:3], v[42:43], v[2:3]
	v_add_f64 v[4:5], v[44:45], -v[4:5]
	v_cndmask_b32_e64 v91, 0, v55, s[6:7]
	v_add_f64 v[2:3], v[2:3], v[4:5]
	v_add_f64 v[4:5], v[6:7], -v[90:91]
	v_add_f64 v[6:7], v[4:5], v[2:3]
	v_add_f64 v[4:5], v[6:7], -v[4:5]
	v_add_f64 v[2:3], v[2:3], -v[4:5]
	v_mul_f64 v[4:5], v[6:7], s[56:57]
	v_fma_f64 v[14:15], v[6:7], s[56:57], -v[4:5]
	v_fmac_f64_e32 v[14:15], s[58:59], v[6:7]
	v_fmac_f64_e32 v[14:15], s[56:57], v[2:3]
	v_add_f64 v[16:17], v[4:5], v[14:15]
	v_add_f64 v[2:3], v[16:17], -v[4:5]
	v_addc_co_u32_e64 v11, s[8:9], 0, v9, s[6:7]
	v_add_f64 v[42:43], v[14:15], -v[2:3]
.LBB0_87:                               ;   in Loop: Header=BB0_34 Depth=1
	s_andn2_saveexec_b64 s[6:7], s[10:11]
	s_cbranch_execz .LBB0_89
; %bb.88:                               ;   in Loop: Header=BB0_34 Depth=1
	v_mul_f64 v[2:3], |v[0:1]|, s[60:61]
	v_rndne_f64_e32 v[2:3], v[2:3]
	s_mov_b32 s62, s56
	v_fma_f64 v[4:5], v[2:3], s[62:63], |v[0:1]|
	v_mul_f64 v[14:15], v[2:3], s[64:65]
	v_add_f64 v[42:43], v[4:5], v[14:15]
	v_fma_f64 v[6:7], s[64:65], v[2:3], v[4:5]
	s_mov_b32 s8, s64
	s_mov_b32 s9, s59
	v_add_f64 v[4:5], v[4:5], -v[42:43]
	v_fma_f64 v[16:17], s[8:9], v[2:3], v[14:15]
	v_add_f64 v[4:5], v[4:5], v[14:15]
	v_add_f64 v[14:15], v[42:43], -v[6:7]
	v_add_f64 v[4:5], v[14:15], v[4:5]
	v_add_f64 v[4:5], v[4:5], -v[16:17]
	v_fmac_f64_e32 v[4:5], s[66:67], v[2:3]
	v_add_f64 v[16:17], v[6:7], v[4:5]
	v_add_f64 v[6:7], v[16:17], -v[6:7]
	v_add_f64 v[42:43], v[4:5], -v[6:7]
	v_cvt_i32_f64_e32 v11, v[2:3]
.LBB0_89:                               ;   in Loop: Header=BB0_34 Depth=1
	s_or_b64 exec, exec, s[6:7]
	v_mul_f64 v[2:3], v[16:17], v[16:17]
	v_pk_mov_b32 v[44:45], v[24:25], v[24:25] op_sel:[0,1]
	v_mul_f64 v[4:5], v[2:3], 0.5
	v_fmac_f64_e32 v[44:45], s[70:71], v[2:3]
	v_pk_mov_b32 v[46:47], v[26:27], v[26:27] op_sel:[0,1]
	v_add_f64 v[6:7], -v[4:5], 1.0
	v_fmac_f64_e32 v[46:47], v[2:3], v[44:45]
	v_pk_mov_b32 v[44:45], v[28:29], v[28:29] op_sel:[0,1]
	v_add_f64 v[14:15], -v[6:7], 1.0
	v_fmac_f64_e32 v[44:45], v[2:3], v[46:47]
	v_pk_mov_b32 v[46:47], v[30:31], v[30:31] op_sel:[0,1]
	v_add_f64 v[4:5], v[14:15], -v[4:5]
	v_fmac_f64_e32 v[46:47], v[2:3], v[44:45]
	v_pk_mov_b32 v[44:45], v[32:33], v[32:33] op_sel:[0,1]
	v_mul_f64 v[14:15], v[2:3], v[2:3]
	v_fmac_f64_e32 v[44:45], v[2:3], v[46:47]
	v_fma_f64 v[4:5], v[16:17], -v[42:43], v[4:5]
	v_fmac_f64_e32 v[4:5], v[14:15], v[44:45]
	v_add_f64 v[4:5], v[6:7], v[4:5]
	v_pk_mov_b32 v[6:7], v[34:35], v[34:35] op_sel:[0,1]
	v_fmac_f64_e32 v[6:7], s[84:85], v[2:3]
	v_pk_mov_b32 v[14:15], v[36:37], v[36:37] op_sel:[0,1]
	v_fmac_f64_e32 v[14:15], v[2:3], v[6:7]
	;; [unrolled: 2-line block ×4, first 2 shown]
	v_mul_f64 v[6:7], v[16:17], -v[2:3]
	v_mul_f64 v[44:45], v[42:43], 0.5
	v_fmac_f64_e32 v[44:45], v[6:7], v[14:15]
	v_fma_f64 v[2:3], v[2:3], v[44:45], -v[42:43]
	v_fmac_f64_e32 v[2:3], s[80:81], v[6:7]
	v_and_b32_e32 v0, 1, v11
	v_add_f64 v[2:3], v[16:17], -v[2:3]
	v_cmp_eq_u32_e64 s[6:7], 0, v0
	v_cndmask_b32_e64 v0, v4, v2, s[6:7]
	v_cndmask_b32_e64 v2, v5, v3, s[6:7]
	v_lshlrev_b32_e32 v3, 30, v11
	v_xor_b32_e32 v1, v3, v1
	v_and_b32_e32 v1, 0x80000000, v1
	v_xor_b32_e32 v1, v2, v1
	v_cndmask_b32_e32 v0, 0, v0, vcc
	v_cndmask_b32_e64 v1, v76, -v1, vcc
	buffer_store_dword v0, off, s[0:3], 0 offset:24
	buffer_store_dword v1, off, s[0:3], 0 offset:28
	global_load_dwordx2 v[0:1], v[12:13], off offset:16
	s_mov_b32 s6, 0
	s_mov_b32 s7, 0x40080000
                                        ; implicit-def: $vgpr11
	s_waitcnt vmcnt(0)
	v_mul_f64 v[2:3], v[20:21], v[0:1]
	v_mul_f64 v[4:5], v[2:3], s[6:7]
	v_fma_f64 v[2:3], -v[2:3], v[2:3], s[6:7]
	v_div_scale_f64 v[6:7], s[6:7], v[2:3], v[2:3], v[4:5]
	v_rcp_f64_e32 v[14:15], v[6:7]
	v_fma_f64 v[16:17], -v[6:7], v[14:15], 1.0
	v_fmac_f64_e32 v[14:15], v[14:15], v[16:17]
	v_fma_f64 v[16:17], -v[6:7], v[14:15], 1.0
	v_fmac_f64_e32 v[14:15], v[14:15], v[16:17]
	v_div_scale_f64 v[16:17], vcc, v[4:5], v[2:3], v[4:5]
	v_mul_f64 v[42:43], v[16:17], v[14:15]
	v_fma_f64 v[6:7], -v[6:7], v[42:43], v[16:17]
	s_nop 1
	v_div_fmas_f64 v[6:7], v[6:7], v[14:15], v[42:43]
	v_div_fixup_f64 v[2:3], v[6:7], v[2:3], v[4:5]
	v_and_b32_e32 v5, 0x7fffffff, v3
	v_mov_b32_e32 v4, v2
	v_div_scale_f64 v[6:7], s[8:9], v[4:5], v[4:5], 1.0
	v_rcp_f64_e32 v[14:15], v[6:7]
	v_cmp_gt_f64_e64 s[6:7], |v[2:3]|, 1.0
	s_mov_b32 s8, 0xb5e68a13
	s_mov_b32 s9, 0x3eeba404
	v_fma_f64 v[16:17], -v[6:7], v[14:15], 1.0
	v_fmac_f64_e32 v[14:15], v[14:15], v[16:17]
	v_fma_f64 v[16:17], -v[6:7], v[14:15], 1.0
	v_fmac_f64_e32 v[14:15], v[14:15], v[16:17]
	v_div_scale_f64 v[16:17], vcc, 1.0, v[4:5], 1.0
	v_mul_f64 v[42:43], v[16:17], v[14:15]
	v_fma_f64 v[6:7], -v[6:7], v[42:43], v[16:17]
	s_nop 1
	v_div_fmas_f64 v[6:7], v[6:7], v[14:15], v[42:43]
	buffer_load_dword v14, off, s[0:3], 0 offset:64 ; 4-byte Folded Reload
	buffer_load_dword v15, off, s[0:3], 0 offset:68 ; 4-byte Folded Reload
	;; [unrolled: 1-line block ×4, first 2 shown]
	v_div_fixup_f64 v[6:7], v[6:7], |v[2:3]|, 1.0
	v_cndmask_b32_e64 v5, v5, v7, s[6:7]
	v_cndmask_b32_e64 v4, v4, v6, s[6:7]
	v_mul_f64 v[6:7], v[4:5], v[4:5]
	s_waitcnt vmcnt(2)
	v_fmac_f64_e32 v[14:15], s[8:9], v[6:7]
	s_waitcnt vmcnt(0)
	v_fmac_f64_e32 v[16:17], v[6:7], v[14:15]
	buffer_load_dword v14, off, s[0:3], 0 offset:80 ; 4-byte Folded Reload
	buffer_load_dword v15, off, s[0:3], 0 offset:84 ; 4-byte Folded Reload
	s_mov_b32 s8, 0x336a0500
	s_mov_b32 s9, 0x3fedd9ad
	s_waitcnt vmcnt(0)
	v_fmac_f64_e32 v[14:15], v[6:7], v[16:17]
	buffer_load_dword v16, off, s[0:3], 0 offset:88 ; 4-byte Folded Reload
	buffer_load_dword v17, off, s[0:3], 0 offset:92 ; 4-byte Folded Reload
	s_waitcnt vmcnt(0)
	v_fmac_f64_e32 v[16:17], v[6:7], v[14:15]
	buffer_load_dword v14, off, s[0:3], 0 offset:96 ; 4-byte Folded Reload
	buffer_load_dword v15, off, s[0:3], 0 offset:100 ; 4-byte Folded Reload
	;; [unrolled: 4-line block ×13, first 2 shown]
	buffer_load_dword v42, off, s[0:3], 0 offset:192 ; 4-byte Folded Reload
	buffer_load_dword v43, off, s[0:3], 0 offset:196 ; 4-byte Folded Reload
	s_waitcnt vmcnt(2)
	v_fmac_f64_e32 v[16:17], v[6:7], v[14:15]
	buffer_load_dword v14, off, s[0:3], 0 offset:200 ; 4-byte Folded Reload
	buffer_load_dword v15, off, s[0:3], 0 offset:204 ; 4-byte Folded Reload
	s_waitcnt vmcnt(2)
	v_fmac_f64_e32 v[42:43], v[6:7], v[16:17]
	v_pk_mov_b32 v[16:17], v[82:83], v[82:83] op_sel:[0,1]
	s_waitcnt vmcnt(0)
	v_fmac_f64_e32 v[14:15], v[6:7], v[42:43]
	v_fmac_f64_e32 v[16:17], v[6:7], v[14:15]
	v_mul_f64 v[6:7], v[6:7], v[16:17]
	v_fmac_f64_e32 v[4:5], v[4:5], v[6:7]
	buffer_load_dword v6, off, s[0:3], 0 offset:208 ; 4-byte Folded Reload
	buffer_load_dword v7, off, s[0:3], 0 offset:212 ; 4-byte Folded Reload
                                        ; implicit-def: $vgpr16_vgpr17
                                        ; implicit-def: $vgpr42_vgpr43
	s_waitcnt vmcnt(0)
	v_fma_f64 v[6:7], s[8:9], v[6:7], -v[4:5]
	v_cndmask_b32_e64 v2, v4, v6, s[6:7]
	v_cndmask_b32_e64 v4, v5, v7, s[6:7]
	v_bfi_b32 v3, s99, v4, v3
	v_fma_f64 v[0:1], v[20:21], v[0:1], -v[2:3]
	v_add_f64 v[0:1], v[0:1], v[0:1]
	v_cmp_nlt_f64_e64 s[8:9], |v[0:1]|, s[50:51]
	v_trig_preop_f64 v[6:7], |v[0:1]|, 0
	v_trig_preop_f64 v[4:5], |v[0:1]|, 1
	v_ldexp_f64 v[14:15], |v[0:1]|, s94
	v_trig_preop_f64 v[2:3], |v[0:1]|, 2
	v_and_b32_e32 v9, 0x7fffffff, v1
	s_and_saveexec_b64 s[6:7], s[8:9]
	s_xor_b64 s[10:11], exec, s[6:7]
	s_cbranch_execz .LBB0_91
; %bb.90:                               ;   in Loop: Header=BB0_34 Depth=1
	v_cmp_ge_f64_e64 vcc, |v[0:1]|, s[52:53]
	v_cndmask_b32_e32 v17, v9, v15, vcc
	v_cndmask_b32_e32 v16, v0, v14, vcc
	v_mul_f64 v[44:45], v[6:7], v[16:17]
	v_mul_f64 v[42:43], v[4:5], v[16:17]
	v_fma_f64 v[46:47], v[6:7], v[16:17], -v[44:45]
	v_add_f64 v[48:49], v[42:43], v[46:47]
	v_add_f64 v[50:51], v[44:45], v[48:49]
	v_ldexp_f64 v[58:59], v[50:51], -2
	v_fract_f64_e32 v[60:61], v[58:59]
	v_cmp_neq_f64_e64 vcc, |v[58:59]|, s[54:55]
	v_cndmask_b32_e32 v59, 0, v61, vcc
	v_cndmask_b32_e32 v58, 0, v60, vcc
	v_add_f64 v[60:61], v[48:49], -v[42:43]
	v_add_f64 v[46:47], v[46:47], -v[60:61]
	v_add_f64 v[60:61], v[48:49], -v[60:61]
	v_add_f64 v[60:61], v[42:43], -v[60:61]
	v_add_f64 v[46:47], v[46:47], v[60:61]
	v_fma_f64 v[42:43], v[4:5], v[16:17], -v[42:43]
	v_mul_f64 v[60:61], v[2:3], v[16:17]
	v_add_f64 v[62:63], v[60:61], v[42:43]
	v_add_f64 v[86:87], v[62:63], v[46:47]
	v_add_f64 v[44:45], v[50:51], -v[44:45]
	v_add_f64 v[50:51], v[86:87], -v[62:63]
	;; [unrolled: 1-line block ×5, first 2 shown]
	v_add_f64 v[46:47], v[46:47], v[50:51]
	v_add_f64 v[50:51], v[62:63], -v[60:61]
	v_add_f64 v[42:43], v[42:43], -v[50:51]
	;; [unrolled: 1-line block ×5, first 2 shown]
	v_add_f64 v[48:49], v[44:45], v[86:87]
	v_add_f64 v[42:43], v[42:43], v[50:51]
	v_add_f64 v[44:45], v[48:49], -v[44:45]
	v_add_f64 v[42:43], v[42:43], v[46:47]
	v_fma_f64 v[16:17], v[2:3], v[16:17], -v[60:61]
	v_add_f64 v[44:45], v[86:87], -v[44:45]
	v_add_f64 v[16:17], v[16:17], v[42:43]
	v_ldexp_f64 v[42:43], v[58:59], 2
	v_add_f64 v[16:17], v[44:45], v[16:17]
	v_add_f64 v[44:45], v[48:49], v[42:43]
	v_cmp_gt_f64_e32 vcc, 0, v[44:45]
	v_cndmask_b32_e32 v91, 0, v54, vcc
	v_add_f64 v[42:43], v[42:43], v[90:91]
	v_add_f64 v[44:45], v[48:49], v[42:43]
	v_cvt_i32_f64_e32 v11, v[44:45]
	v_cvt_f64_i32_e32 v[44:45], v11
	v_add_f64 v[42:43], v[42:43], -v[44:45]
	v_add_f64 v[44:45], v[48:49], v[42:43]
	v_add_f64 v[42:43], v[44:45], -v[42:43]
	v_cmp_le_f64_e32 vcc, 0.5, v[44:45]
	v_add_f64 v[42:43], v[48:49], -v[42:43]
	v_cndmask_b32_e32 v91, 0, v55, vcc
	v_add_f64 v[16:17], v[16:17], v[42:43]
	v_add_f64 v[42:43], v[44:45], -v[90:91]
	v_add_f64 v[44:45], v[42:43], v[16:17]
	v_add_f64 v[42:43], v[44:45], -v[42:43]
	v_add_f64 v[16:17], v[16:17], -v[42:43]
	v_mul_f64 v[42:43], v[44:45], s[56:57]
	v_fma_f64 v[46:47], v[44:45], s[56:57], -v[42:43]
	v_fmac_f64_e32 v[46:47], s[58:59], v[44:45]
	v_fmac_f64_e32 v[46:47], s[56:57], v[16:17]
	v_add_f64 v[16:17], v[42:43], v[46:47]
	v_add_f64 v[42:43], v[16:17], -v[42:43]
	v_addc_co_u32_e64 v11, s[6:7], 0, v11, vcc
	v_add_f64 v[42:43], v[46:47], -v[42:43]
.LBB0_91:                               ;   in Loop: Header=BB0_34 Depth=1
	s_andn2_saveexec_b64 s[6:7], s[10:11]
	s_cbranch_execz .LBB0_93
; %bb.92:                               ;   in Loop: Header=BB0_34 Depth=1
	v_mul_f64 v[16:17], |v[0:1]|, s[60:61]
	v_rndne_f64_e32 v[44:45], v[16:17]
	s_mov_b32 s62, s56
	v_fma_f64 v[16:17], v[44:45], s[62:63], |v[0:1]|
	v_mul_f64 v[46:47], v[44:45], s[64:65]
	v_add_f64 v[50:51], v[16:17], v[46:47]
	v_fma_f64 v[42:43], s[64:65], v[44:45], v[16:17]
	s_mov_b32 s10, s64
	s_mov_b32 s11, s59
	v_add_f64 v[16:17], v[16:17], -v[50:51]
	v_fma_f64 v[48:49], s[10:11], v[44:45], v[46:47]
	v_add_f64 v[16:17], v[16:17], v[46:47]
	v_add_f64 v[46:47], v[50:51], -v[42:43]
	v_add_f64 v[16:17], v[46:47], v[16:17]
	v_add_f64 v[46:47], v[16:17], -v[48:49]
	v_fmac_f64_e32 v[46:47], s[66:67], v[44:45]
	v_add_f64 v[16:17], v[42:43], v[46:47]
	v_add_f64 v[42:43], v[16:17], -v[42:43]
	v_add_f64 v[42:43], v[46:47], -v[42:43]
	v_cvt_i32_f64_e32 v11, v[44:45]
.LBB0_93:                               ;   in Loop: Header=BB0_34 Depth=1
	s_or_b64 exec, exec, s[6:7]
	v_mul_f64 v[44:45], v[16:17], v[16:17]
	v_pk_mov_b32 v[58:59], v[24:25], v[24:25] op_sel:[0,1]
	v_mul_f64 v[46:47], v[44:45], 0.5
	v_fmac_f64_e32 v[58:59], s[70:71], v[44:45]
	v_pk_mov_b32 v[60:61], v[26:27], v[26:27] op_sel:[0,1]
	v_add_f64 v[48:49], -v[46:47], 1.0
	v_fmac_f64_e32 v[60:61], v[44:45], v[58:59]
	v_pk_mov_b32 v[58:59], v[28:29], v[28:29] op_sel:[0,1]
	v_add_f64 v[50:51], -v[48:49], 1.0
	v_fmac_f64_e32 v[58:59], v[44:45], v[60:61]
	v_pk_mov_b32 v[60:61], v[30:31], v[30:31] op_sel:[0,1]
	v_add_f64 v[46:47], v[50:51], -v[46:47]
	v_fmac_f64_e32 v[60:61], v[44:45], v[58:59]
	v_pk_mov_b32 v[58:59], v[32:33], v[32:33] op_sel:[0,1]
	v_mul_f64 v[50:51], v[44:45], v[44:45]
	v_fmac_f64_e32 v[58:59], v[44:45], v[60:61]
	v_fma_f64 v[46:47], v[16:17], -v[42:43], v[46:47]
	v_fmac_f64_e32 v[46:47], v[50:51], v[58:59]
	v_add_f64 v[46:47], v[48:49], v[46:47]
	v_pk_mov_b32 v[48:49], v[34:35], v[34:35] op_sel:[0,1]
	v_fmac_f64_e32 v[48:49], s[84:85], v[44:45]
	v_pk_mov_b32 v[50:51], v[36:37], v[36:37] op_sel:[0,1]
	v_fmac_f64_e32 v[50:51], v[44:45], v[48:49]
	;; [unrolled: 2-line block ×4, first 2 shown]
	v_mul_f64 v[48:49], v[16:17], -v[44:45]
	v_mul_f64 v[58:59], v[42:43], 0.5
	v_fmac_f64_e32 v[58:59], v[48:49], v[50:51]
	v_fma_f64 v[42:43], v[44:45], v[58:59], -v[42:43]
	v_fmac_f64_e32 v[42:43], s[80:81], v[48:49]
	v_add_f64 v[16:17], v[16:17], -v[42:43]
	v_and_b32_e32 v42, 1, v11
	v_xor_b32_e32 v17, 0x80000000, v17
	v_cmp_eq_u32_e32 vcc, 0, v42
	v_lshlrev_b32_e32 v11, 30, v11
	v_cndmask_b32_e32 v17, v17, v47, vcc
	v_and_b32_e32 v11, 0x80000000, v11
	v_cndmask_b32_e32 v16, v16, v46, vcc
	v_xor_b32_e32 v11, v17, v11
	v_cmp_class_f64_e64 vcc, v[0:1], s95
	v_cndmask_b32_e32 v11, v56, v11, vcc
	v_cndmask_b32_e32 v16, 0, v16, vcc
	buffer_store_dword v16, off, s[0:3], 0 offset:32
	buffer_store_dword v11, off, s[0:3], 0 offset:36
                                        ; implicit-def: $vgpr11
                                        ; implicit-def: $vgpr16_vgpr17
                                        ; implicit-def: $vgpr42_vgpr43
	s_and_saveexec_b64 s[6:7], s[8:9]
	s_xor_b64 s[10:11], exec, s[6:7]
	s_cbranch_execz .LBB0_95
; %bb.94:                               ;   in Loop: Header=BB0_34 Depth=1
	v_cmp_ge_f64_e64 s[6:7], |v[0:1]|, s[52:53]
	v_cndmask_b32_e64 v15, v9, v15, s[6:7]
	v_cndmask_b32_e64 v14, v0, v14, s[6:7]
	v_mul_f64 v[42:43], v[6:7], v[14:15]
	v_mul_f64 v[16:17], v[4:5], v[14:15]
	v_fma_f64 v[6:7], v[6:7], v[14:15], -v[42:43]
	v_add_f64 v[44:45], v[16:17], v[6:7]
	v_add_f64 v[46:47], v[42:43], v[44:45]
	v_ldexp_f64 v[48:49], v[46:47], -2
	v_fract_f64_e32 v[50:51], v[48:49]
	v_cmp_neq_f64_e64 s[6:7], |v[48:49]|, s[54:55]
	v_cndmask_b32_e64 v49, 0, v51, s[6:7]
	v_cndmask_b32_e64 v48, 0, v50, s[6:7]
	v_add_f64 v[50:51], v[44:45], -v[16:17]
	v_add_f64 v[6:7], v[6:7], -v[50:51]
	;; [unrolled: 1-line block ×4, first 2 shown]
	v_fma_f64 v[4:5], v[4:5], v[14:15], -v[16:17]
	v_mul_f64 v[16:17], v[2:3], v[14:15]
	v_add_f64 v[6:7], v[6:7], v[50:51]
	v_add_f64 v[50:51], v[16:17], v[4:5]
	;; [unrolled: 1-line block ×3, first 2 shown]
	v_add_f64 v[42:43], v[46:47], -v[42:43]
	v_add_f64 v[46:47], v[58:59], -v[50:51]
	v_add_f64 v[6:7], v[6:7], -v[46:47]
	v_add_f64 v[46:47], v[58:59], -v[46:47]
	v_add_f64 v[46:47], v[50:51], -v[46:47]
	v_add_f64 v[6:7], v[6:7], v[46:47]
	v_add_f64 v[46:47], v[50:51], -v[16:17]
	v_add_f64 v[4:5], v[4:5], -v[46:47]
	;; [unrolled: 1-line block ×4, first 2 shown]
	v_add_f64 v[4:5], v[4:5], v[46:47]
	v_add_f64 v[42:43], v[44:45], -v[42:43]
	v_add_f64 v[4:5], v[4:5], v[6:7]
	v_fma_f64 v[2:3], v[2:3], v[14:15], -v[16:17]
	v_add_f64 v[44:45], v[42:43], v[58:59]
	v_add_f64 v[2:3], v[2:3], v[4:5]
	v_ldexp_f64 v[4:5], v[48:49], 2
	v_add_f64 v[6:7], v[44:45], v[4:5]
	v_cmp_gt_f64_e64 s[6:7], 0, v[6:7]
	v_cndmask_b32_e64 v91, 0, v54, s[6:7]
	v_add_f64 v[4:5], v[4:5], v[90:91]
	v_add_f64 v[6:7], v[44:45], v[4:5]
	v_cvt_i32_f64_e32 v9, v[6:7]
	v_cvt_f64_i32_e32 v[6:7], v9
	v_add_f64 v[4:5], v[4:5], -v[6:7]
	v_add_f64 v[42:43], v[44:45], -v[42:43]
	v_add_f64 v[6:7], v[44:45], v[4:5]
	v_add_f64 v[42:43], v[58:59], -v[42:43]
	v_add_f64 v[4:5], v[6:7], -v[4:5]
	v_cmp_le_f64_e64 s[6:7], 0.5, v[6:7]
	v_add_f64 v[2:3], v[42:43], v[2:3]
	v_add_f64 v[4:5], v[44:45], -v[4:5]
	v_cndmask_b32_e64 v91, 0, v55, s[6:7]
	v_add_f64 v[2:3], v[2:3], v[4:5]
	v_add_f64 v[4:5], v[6:7], -v[90:91]
	v_add_f64 v[6:7], v[4:5], v[2:3]
	v_add_f64 v[4:5], v[6:7], -v[4:5]
	v_add_f64 v[2:3], v[2:3], -v[4:5]
	v_mul_f64 v[4:5], v[6:7], s[56:57]
	v_fma_f64 v[14:15], v[6:7], s[56:57], -v[4:5]
	v_fmac_f64_e32 v[14:15], s[58:59], v[6:7]
	v_fmac_f64_e32 v[14:15], s[56:57], v[2:3]
	v_add_f64 v[16:17], v[4:5], v[14:15]
	v_add_f64 v[2:3], v[16:17], -v[4:5]
	v_addc_co_u32_e64 v11, s[8:9], 0, v9, s[6:7]
	v_add_f64 v[42:43], v[14:15], -v[2:3]
.LBB0_95:                               ;   in Loop: Header=BB0_34 Depth=1
	s_andn2_saveexec_b64 s[6:7], s[10:11]
	s_cbranch_execz .LBB0_97
; %bb.96:                               ;   in Loop: Header=BB0_34 Depth=1
	v_mul_f64 v[2:3], |v[0:1]|, s[60:61]
	v_rndne_f64_e32 v[2:3], v[2:3]
	s_mov_b32 s62, s56
	v_fma_f64 v[4:5], v[2:3], s[62:63], |v[0:1]|
	v_mul_f64 v[14:15], v[2:3], s[64:65]
	v_add_f64 v[42:43], v[4:5], v[14:15]
	v_fma_f64 v[6:7], s[64:65], v[2:3], v[4:5]
	s_mov_b32 s8, s64
	s_mov_b32 s9, s59
	v_add_f64 v[4:5], v[4:5], -v[42:43]
	v_fma_f64 v[16:17], s[8:9], v[2:3], v[14:15]
	v_add_f64 v[4:5], v[4:5], v[14:15]
	v_add_f64 v[14:15], v[42:43], -v[6:7]
	v_add_f64 v[4:5], v[14:15], v[4:5]
	v_add_f64 v[4:5], v[4:5], -v[16:17]
	v_fmac_f64_e32 v[4:5], s[66:67], v[2:3]
	v_add_f64 v[16:17], v[6:7], v[4:5]
	v_add_f64 v[6:7], v[16:17], -v[6:7]
	v_add_f64 v[42:43], v[4:5], -v[6:7]
	v_cvt_i32_f64_e32 v11, v[2:3]
.LBB0_97:                               ;   in Loop: Header=BB0_34 Depth=1
	s_or_b64 exec, exec, s[6:7]
	v_mul_f64 v[2:3], v[16:17], v[16:17]
	v_pk_mov_b32 v[44:45], v[24:25], v[24:25] op_sel:[0,1]
	v_mul_f64 v[4:5], v[2:3], 0.5
	v_fmac_f64_e32 v[44:45], s[70:71], v[2:3]
	v_pk_mov_b32 v[46:47], v[26:27], v[26:27] op_sel:[0,1]
	v_add_f64 v[6:7], -v[4:5], 1.0
	v_fmac_f64_e32 v[46:47], v[2:3], v[44:45]
	v_pk_mov_b32 v[44:45], v[28:29], v[28:29] op_sel:[0,1]
	v_add_f64 v[14:15], -v[6:7], 1.0
	v_fmac_f64_e32 v[44:45], v[2:3], v[46:47]
	v_pk_mov_b32 v[46:47], v[30:31], v[30:31] op_sel:[0,1]
	v_add_f64 v[4:5], v[14:15], -v[4:5]
	v_fmac_f64_e32 v[46:47], v[2:3], v[44:45]
	v_pk_mov_b32 v[44:45], v[32:33], v[32:33] op_sel:[0,1]
	v_mul_f64 v[14:15], v[2:3], v[2:3]
	v_fmac_f64_e32 v[44:45], v[2:3], v[46:47]
	v_fma_f64 v[4:5], v[16:17], -v[42:43], v[4:5]
	v_fmac_f64_e32 v[4:5], v[14:15], v[44:45]
	v_add_f64 v[4:5], v[6:7], v[4:5]
	v_pk_mov_b32 v[6:7], v[34:35], v[34:35] op_sel:[0,1]
	v_fmac_f64_e32 v[6:7], s[84:85], v[2:3]
	v_pk_mov_b32 v[14:15], v[36:37], v[36:37] op_sel:[0,1]
	v_fmac_f64_e32 v[14:15], v[2:3], v[6:7]
	;; [unrolled: 2-line block ×4, first 2 shown]
	v_mul_f64 v[6:7], v[16:17], -v[2:3]
	v_mul_f64 v[44:45], v[42:43], 0.5
	v_fmac_f64_e32 v[44:45], v[6:7], v[14:15]
	v_fma_f64 v[2:3], v[2:3], v[44:45], -v[42:43]
	v_fmac_f64_e32 v[2:3], s[80:81], v[6:7]
	v_and_b32_e32 v0, 1, v11
	v_add_f64 v[2:3], v[16:17], -v[2:3]
	v_cmp_eq_u32_e64 s[6:7], 0, v0
	v_cndmask_b32_e64 v0, v4, v2, s[6:7]
	v_cndmask_b32_e64 v2, v5, v3, s[6:7]
	v_lshlrev_b32_e32 v3, 30, v11
	v_xor_b32_e32 v1, v3, v1
	v_and_b32_e32 v1, 0x80000000, v1
	v_xor_b32_e32 v1, v2, v1
	v_cndmask_b32_e32 v0, 0, v0, vcc
	v_cndmask_b32_e64 v1, v76, -v1, vcc
	buffer_store_dword v0, off, s[0:3], 0 offset:40
	buffer_store_dword v1, off, s[0:3], 0 offset:44
	global_load_dwordx2 v[0:1], v[12:13], off offset:24
	v_mov_b32_e32 v4, 0
	s_mov_b32 s6, 0
	v_mov_b32_e32 v5, 0x402e0000
	s_mov_b32 s7, 0xc0180000
                                        ; implicit-def: $vgpr11
	s_waitcnt vmcnt(0)
	v_mul_f64 v[2:3], v[20:21], v[0:1]
	v_fma_f64 v[6:7], -v[2:3], v[2:3], v[4:5]
	v_mul_f64 v[12:13], v[2:3], s[6:7]
	v_mul_f64 v[6:7], v[2:3], v[6:7]
	v_fmac_f64_e32 v[4:5], v[2:3], v[12:13]
	v_div_scale_f64 v[2:3], s[6:7], v[4:5], v[4:5], v[6:7]
	v_rcp_f64_e32 v[12:13], v[2:3]
	v_fma_f64 v[14:15], -v[2:3], v[12:13], 1.0
	v_fmac_f64_e32 v[12:13], v[12:13], v[14:15]
	v_fma_f64 v[14:15], -v[2:3], v[12:13], 1.0
	v_fmac_f64_e32 v[12:13], v[12:13], v[14:15]
	v_div_scale_f64 v[14:15], vcc, v[6:7], v[4:5], v[6:7]
	v_mul_f64 v[16:17], v[14:15], v[12:13]
	v_fma_f64 v[2:3], -v[2:3], v[16:17], v[14:15]
	s_nop 1
	v_div_fmas_f64 v[2:3], v[2:3], v[12:13], v[16:17]
	v_div_fixup_f64 v[2:3], v[2:3], v[4:5], v[6:7]
	v_and_b32_e32 v5, 0x7fffffff, v3
	v_mov_b32_e32 v4, v2
	v_div_scale_f64 v[6:7], s[8:9], v[4:5], v[4:5], 1.0
	v_rcp_f64_e32 v[12:13], v[6:7]
	v_cmp_gt_f64_e64 s[6:7], |v[2:3]|, 1.0
	s_mov_b32 s8, 0xb5e68a13
	s_mov_b32 s9, 0x3eeba404
	v_fma_f64 v[14:15], -v[6:7], v[12:13], 1.0
	v_fmac_f64_e32 v[12:13], v[12:13], v[14:15]
	v_fma_f64 v[14:15], -v[6:7], v[12:13], 1.0
	v_fmac_f64_e32 v[12:13], v[12:13], v[14:15]
	v_div_scale_f64 v[14:15], vcc, 1.0, v[4:5], 1.0
	v_mul_f64 v[16:17], v[14:15], v[12:13]
	v_fma_f64 v[6:7], -v[6:7], v[16:17], v[14:15]
	s_nop 1
	v_div_fmas_f64 v[6:7], v[6:7], v[12:13], v[16:17]
	buffer_load_dword v12, off, s[0:3], 0 offset:64 ; 4-byte Folded Reload
	buffer_load_dword v13, off, s[0:3], 0 offset:68 ; 4-byte Folded Reload
	;; [unrolled: 1-line block ×4, first 2 shown]
	v_div_fixup_f64 v[6:7], v[6:7], |v[2:3]|, 1.0
	v_cndmask_b32_e64 v5, v5, v7, s[6:7]
	v_cndmask_b32_e64 v4, v4, v6, s[6:7]
	v_mul_f64 v[6:7], v[4:5], v[4:5]
	s_waitcnt vmcnt(2)
	v_fmac_f64_e32 v[12:13], s[8:9], v[6:7]
	s_waitcnt vmcnt(0)
	v_fmac_f64_e32 v[14:15], v[6:7], v[12:13]
	buffer_load_dword v12, off, s[0:3], 0 offset:80 ; 4-byte Folded Reload
	buffer_load_dword v13, off, s[0:3], 0 offset:84 ; 4-byte Folded Reload
	s_mov_b32 s8, 0x336a0500
	s_mov_b32 s9, 0x3fedd9ad
	s_waitcnt vmcnt(0)
	v_fmac_f64_e32 v[12:13], v[6:7], v[14:15]
	buffer_load_dword v14, off, s[0:3], 0 offset:88 ; 4-byte Folded Reload
	buffer_load_dword v15, off, s[0:3], 0 offset:92 ; 4-byte Folded Reload
	s_waitcnt vmcnt(0)
	v_fmac_f64_e32 v[14:15], v[6:7], v[12:13]
	buffer_load_dword v12, off, s[0:3], 0 offset:96 ; 4-byte Folded Reload
	buffer_load_dword v13, off, s[0:3], 0 offset:100 ; 4-byte Folded Reload
	;; [unrolled: 4-line block ×13, first 2 shown]
	buffer_load_dword v16, off, s[0:3], 0 offset:192 ; 4-byte Folded Reload
	buffer_load_dword v17, off, s[0:3], 0 offset:196 ; 4-byte Folded Reload
	s_waitcnt vmcnt(2)
	v_fmac_f64_e32 v[14:15], v[6:7], v[12:13]
	buffer_load_dword v12, off, s[0:3], 0 offset:200 ; 4-byte Folded Reload
	buffer_load_dword v13, off, s[0:3], 0 offset:204 ; 4-byte Folded Reload
	s_waitcnt vmcnt(2)
	v_fmac_f64_e32 v[16:17], v[6:7], v[14:15]
	v_pk_mov_b32 v[14:15], v[82:83], v[82:83] op_sel:[0,1]
	s_waitcnt vmcnt(0)
	v_fmac_f64_e32 v[12:13], v[6:7], v[16:17]
	v_fmac_f64_e32 v[14:15], v[6:7], v[12:13]
	v_mul_f64 v[6:7], v[6:7], v[14:15]
	v_fmac_f64_e32 v[4:5], v[4:5], v[6:7]
	buffer_load_dword v6, off, s[0:3], 0 offset:208 ; 4-byte Folded Reload
	buffer_load_dword v7, off, s[0:3], 0 offset:212 ; 4-byte Folded Reload
                                        ; implicit-def: $vgpr14_vgpr15
                                        ; implicit-def: $vgpr16_vgpr17
	s_waitcnt vmcnt(0)
	v_fma_f64 v[6:7], s[8:9], v[6:7], -v[4:5]
	v_cndmask_b32_e64 v2, v4, v6, s[6:7]
	v_cndmask_b32_e64 v4, v5, v7, s[6:7]
	v_bfi_b32 v3, s99, v4, v3
	v_fma_f64 v[0:1], v[20:21], v[0:1], -v[2:3]
	v_add_f64 v[0:1], v[0:1], v[0:1]
	v_cmp_nlt_f64_e64 s[8:9], |v[0:1]|, s[50:51]
	v_trig_preop_f64 v[6:7], |v[0:1]|, 0
	v_trig_preop_f64 v[4:5], |v[0:1]|, 1
	v_ldexp_f64 v[12:13], |v[0:1]|, s94
	v_trig_preop_f64 v[2:3], |v[0:1]|, 2
	v_and_b32_e32 v9, 0x7fffffff, v1
	s_and_saveexec_b64 s[6:7], s[8:9]
	s_xor_b64 s[10:11], exec, s[6:7]
	s_cbranch_execz .LBB0_99
; %bb.98:                               ;   in Loop: Header=BB0_34 Depth=1
	v_cmp_ge_f64_e64 vcc, |v[0:1]|, s[52:53]
	v_cndmask_b32_e32 v15, v9, v13, vcc
	v_cndmask_b32_e32 v14, v0, v12, vcc
	v_mul_f64 v[42:43], v[6:7], v[14:15]
	v_mul_f64 v[16:17], v[4:5], v[14:15]
	v_fma_f64 v[44:45], v[6:7], v[14:15], -v[42:43]
	v_add_f64 v[46:47], v[16:17], v[44:45]
	v_add_f64 v[48:49], v[42:43], v[46:47]
	v_ldexp_f64 v[50:51], v[48:49], -2
	v_fract_f64_e32 v[58:59], v[50:51]
	v_cmp_neq_f64_e64 vcc, |v[50:51]|, s[54:55]
	v_cndmask_b32_e32 v51, 0, v59, vcc
	v_cndmask_b32_e32 v50, 0, v58, vcc
	v_add_f64 v[58:59], v[46:47], -v[16:17]
	v_add_f64 v[44:45], v[44:45], -v[58:59]
	;; [unrolled: 1-line block ×4, first 2 shown]
	v_add_f64 v[44:45], v[44:45], v[58:59]
	v_fma_f64 v[16:17], v[4:5], v[14:15], -v[16:17]
	v_mul_f64 v[58:59], v[2:3], v[14:15]
	v_add_f64 v[60:61], v[58:59], v[16:17]
	v_add_f64 v[62:63], v[60:61], v[44:45]
	v_add_f64 v[42:43], v[48:49], -v[42:43]
	v_add_f64 v[48:49], v[62:63], -v[60:61]
	;; [unrolled: 1-line block ×5, first 2 shown]
	v_add_f64 v[44:45], v[44:45], v[48:49]
	v_add_f64 v[48:49], v[60:61], -v[58:59]
	v_add_f64 v[16:17], v[16:17], -v[48:49]
	;; [unrolled: 1-line block ×5, first 2 shown]
	v_add_f64 v[46:47], v[42:43], v[62:63]
	v_add_f64 v[16:17], v[16:17], v[48:49]
	v_add_f64 v[42:43], v[46:47], -v[42:43]
	v_add_f64 v[16:17], v[16:17], v[44:45]
	v_fma_f64 v[14:15], v[2:3], v[14:15], -v[58:59]
	v_add_f64 v[42:43], v[62:63], -v[42:43]
	v_add_f64 v[14:15], v[14:15], v[16:17]
	v_ldexp_f64 v[16:17], v[50:51], 2
	v_add_f64 v[14:15], v[42:43], v[14:15]
	v_add_f64 v[42:43], v[46:47], v[16:17]
	v_cmp_gt_f64_e32 vcc, 0, v[42:43]
	v_cndmask_b32_e32 v91, 0, v54, vcc
	v_add_f64 v[16:17], v[16:17], v[90:91]
	v_add_f64 v[42:43], v[46:47], v[16:17]
	v_cvt_i32_f64_e32 v11, v[42:43]
	v_cvt_f64_i32_e32 v[42:43], v11
	v_add_f64 v[16:17], v[16:17], -v[42:43]
	v_add_f64 v[42:43], v[46:47], v[16:17]
	v_add_f64 v[16:17], v[42:43], -v[16:17]
	v_cmp_le_f64_e32 vcc, 0.5, v[42:43]
	v_add_f64 v[16:17], v[46:47], -v[16:17]
	v_cndmask_b32_e32 v91, 0, v55, vcc
	v_add_f64 v[14:15], v[14:15], v[16:17]
	v_add_f64 v[16:17], v[42:43], -v[90:91]
	v_add_f64 v[42:43], v[16:17], v[14:15]
	v_add_f64 v[16:17], v[42:43], -v[16:17]
	v_add_f64 v[14:15], v[14:15], -v[16:17]
	v_mul_f64 v[16:17], v[42:43], s[56:57]
	v_fma_f64 v[44:45], v[42:43], s[56:57], -v[16:17]
	v_fmac_f64_e32 v[44:45], s[58:59], v[42:43]
	v_fmac_f64_e32 v[44:45], s[56:57], v[14:15]
	v_add_f64 v[14:15], v[16:17], v[44:45]
	v_add_f64 v[16:17], v[14:15], -v[16:17]
	v_addc_co_u32_e64 v11, s[6:7], 0, v11, vcc
	v_add_f64 v[16:17], v[44:45], -v[16:17]
.LBB0_99:                               ;   in Loop: Header=BB0_34 Depth=1
	s_andn2_saveexec_b64 s[6:7], s[10:11]
	s_cbranch_execz .LBB0_101
; %bb.100:                              ;   in Loop: Header=BB0_34 Depth=1
	v_mul_f64 v[14:15], |v[0:1]|, s[60:61]
	v_rndne_f64_e32 v[42:43], v[14:15]
	s_mov_b32 s62, s56
	v_fma_f64 v[14:15], v[42:43], s[62:63], |v[0:1]|
	v_mul_f64 v[44:45], v[42:43], s[64:65]
	v_add_f64 v[48:49], v[14:15], v[44:45]
	v_fma_f64 v[16:17], s[64:65], v[42:43], v[14:15]
	s_mov_b32 s10, s64
	s_mov_b32 s11, s59
	v_add_f64 v[14:15], v[14:15], -v[48:49]
	v_fma_f64 v[46:47], s[10:11], v[42:43], v[44:45]
	v_add_f64 v[14:15], v[14:15], v[44:45]
	v_add_f64 v[44:45], v[48:49], -v[16:17]
	v_add_f64 v[14:15], v[44:45], v[14:15]
	v_add_f64 v[44:45], v[14:15], -v[46:47]
	v_fmac_f64_e32 v[44:45], s[66:67], v[42:43]
	v_add_f64 v[14:15], v[16:17], v[44:45]
	v_add_f64 v[16:17], v[14:15], -v[16:17]
	v_add_f64 v[16:17], v[44:45], -v[16:17]
	v_cvt_i32_f64_e32 v11, v[42:43]
.LBB0_101:                              ;   in Loop: Header=BB0_34 Depth=1
	s_or_b64 exec, exec, s[6:7]
	v_mul_f64 v[42:43], v[14:15], v[14:15]
	v_pk_mov_b32 v[50:51], v[24:25], v[24:25] op_sel:[0,1]
	v_mul_f64 v[44:45], v[42:43], 0.5
	v_fmac_f64_e32 v[50:51], s[70:71], v[42:43]
	v_pk_mov_b32 v[58:59], v[26:27], v[26:27] op_sel:[0,1]
	v_add_f64 v[46:47], -v[44:45], 1.0
	v_fmac_f64_e32 v[58:59], v[42:43], v[50:51]
	v_pk_mov_b32 v[50:51], v[28:29], v[28:29] op_sel:[0,1]
	v_add_f64 v[48:49], -v[46:47], 1.0
	v_fmac_f64_e32 v[50:51], v[42:43], v[58:59]
	v_pk_mov_b32 v[58:59], v[30:31], v[30:31] op_sel:[0,1]
	v_add_f64 v[44:45], v[48:49], -v[44:45]
	v_fmac_f64_e32 v[58:59], v[42:43], v[50:51]
	v_pk_mov_b32 v[50:51], v[32:33], v[32:33] op_sel:[0,1]
	v_mul_f64 v[48:49], v[42:43], v[42:43]
	v_fmac_f64_e32 v[50:51], v[42:43], v[58:59]
	v_fma_f64 v[44:45], v[14:15], -v[16:17], v[44:45]
	v_fmac_f64_e32 v[44:45], v[48:49], v[50:51]
	v_add_f64 v[44:45], v[46:47], v[44:45]
	v_pk_mov_b32 v[46:47], v[34:35], v[34:35] op_sel:[0,1]
	v_fmac_f64_e32 v[46:47], s[84:85], v[42:43]
	v_pk_mov_b32 v[48:49], v[36:37], v[36:37] op_sel:[0,1]
	v_fmac_f64_e32 v[48:49], v[42:43], v[46:47]
	v_pk_mov_b32 v[46:47], v[38:39], v[38:39] op_sel:[0,1]
	v_fmac_f64_e32 v[46:47], v[42:43], v[48:49]
	v_pk_mov_b32 v[48:49], v[40:41], v[40:41] op_sel:[0,1]
	v_fmac_f64_e32 v[48:49], v[42:43], v[46:47]
	v_mul_f64 v[46:47], v[14:15], -v[42:43]
	v_mul_f64 v[50:51], v[16:17], 0.5
	v_fmac_f64_e32 v[50:51], v[46:47], v[48:49]
	v_fma_f64 v[16:17], v[42:43], v[50:51], -v[16:17]
	v_fmac_f64_e32 v[16:17], s[80:81], v[46:47]
	v_add_f64 v[14:15], v[14:15], -v[16:17]
	v_and_b32_e32 v16, 1, v11
	v_xor_b32_e32 v15, 0x80000000, v15
	v_cmp_eq_u32_e32 vcc, 0, v16
	v_lshlrev_b32_e32 v11, 30, v11
	v_cndmask_b32_e32 v15, v15, v45, vcc
	v_and_b32_e32 v11, 0x80000000, v11
	v_cndmask_b32_e32 v14, v14, v44, vcc
	v_xor_b32_e32 v11, v15, v11
	v_cmp_class_f64_e64 vcc, v[0:1], s95
	v_cndmask_b32_e32 v11, v56, v11, vcc
	v_cndmask_b32_e32 v14, 0, v14, vcc
	buffer_store_dword v14, off, s[0:3], 0 offset:48
	buffer_store_dword v11, off, s[0:3], 0 offset:52
                                        ; implicit-def: $vgpr11
                                        ; implicit-def: $vgpr14_vgpr15
                                        ; implicit-def: $vgpr16_vgpr17
	s_and_saveexec_b64 s[6:7], s[8:9]
	s_xor_b64 s[10:11], exec, s[6:7]
	s_cbranch_execz .LBB0_103
; %bb.102:                              ;   in Loop: Header=BB0_34 Depth=1
	v_cmp_ge_f64_e64 s[6:7], |v[0:1]|, s[52:53]
	v_cndmask_b32_e64 v13, v9, v13, s[6:7]
	v_cndmask_b32_e64 v12, v0, v12, s[6:7]
	v_mul_f64 v[16:17], v[6:7], v[12:13]
	v_mul_f64 v[14:15], v[4:5], v[12:13]
	v_fma_f64 v[6:7], v[6:7], v[12:13], -v[16:17]
	v_add_f64 v[42:43], v[14:15], v[6:7]
	v_add_f64 v[44:45], v[16:17], v[42:43]
	v_ldexp_f64 v[46:47], v[44:45], -2
	v_fract_f64_e32 v[48:49], v[46:47]
	v_cmp_neq_f64_e64 s[6:7], |v[46:47]|, s[54:55]
	v_cndmask_b32_e64 v47, 0, v49, s[6:7]
	v_cndmask_b32_e64 v46, 0, v48, s[6:7]
	v_add_f64 v[48:49], v[42:43], -v[14:15]
	v_add_f64 v[6:7], v[6:7], -v[48:49]
	;; [unrolled: 1-line block ×4, first 2 shown]
	v_fma_f64 v[4:5], v[4:5], v[12:13], -v[14:15]
	v_mul_f64 v[14:15], v[2:3], v[12:13]
	v_add_f64 v[6:7], v[6:7], v[48:49]
	v_add_f64 v[48:49], v[14:15], v[4:5]
	;; [unrolled: 1-line block ×3, first 2 shown]
	v_add_f64 v[16:17], v[44:45], -v[16:17]
	v_add_f64 v[44:45], v[50:51], -v[48:49]
	;; [unrolled: 1-line block ×5, first 2 shown]
	v_add_f64 v[6:7], v[6:7], v[44:45]
	v_add_f64 v[44:45], v[48:49], -v[14:15]
	v_add_f64 v[4:5], v[4:5], -v[44:45]
	;; [unrolled: 1-line block ×4, first 2 shown]
	v_add_f64 v[4:5], v[4:5], v[44:45]
	v_add_f64 v[16:17], v[42:43], -v[16:17]
	v_add_f64 v[4:5], v[4:5], v[6:7]
	v_fma_f64 v[2:3], v[2:3], v[12:13], -v[14:15]
	v_add_f64 v[42:43], v[16:17], v[50:51]
	v_add_f64 v[2:3], v[2:3], v[4:5]
	v_ldexp_f64 v[4:5], v[46:47], 2
	v_add_f64 v[6:7], v[42:43], v[4:5]
	v_cmp_gt_f64_e64 s[6:7], 0, v[6:7]
	v_cndmask_b32_e64 v91, 0, v54, s[6:7]
	v_add_f64 v[4:5], v[4:5], v[90:91]
	v_add_f64 v[6:7], v[42:43], v[4:5]
	v_cvt_i32_f64_e32 v9, v[6:7]
	v_cvt_f64_i32_e32 v[6:7], v9
	v_add_f64 v[4:5], v[4:5], -v[6:7]
	v_add_f64 v[16:17], v[42:43], -v[16:17]
	v_add_f64 v[6:7], v[42:43], v[4:5]
	v_add_f64 v[16:17], v[50:51], -v[16:17]
	v_add_f64 v[4:5], v[6:7], -v[4:5]
	v_cmp_le_f64_e64 s[6:7], 0.5, v[6:7]
	v_add_f64 v[2:3], v[16:17], v[2:3]
	v_add_f64 v[4:5], v[42:43], -v[4:5]
	v_cndmask_b32_e64 v91, 0, v55, s[6:7]
	v_add_f64 v[2:3], v[2:3], v[4:5]
	v_add_f64 v[4:5], v[6:7], -v[90:91]
	v_add_f64 v[6:7], v[4:5], v[2:3]
	v_add_f64 v[4:5], v[6:7], -v[4:5]
	v_add_f64 v[2:3], v[2:3], -v[4:5]
	v_mul_f64 v[4:5], v[6:7], s[56:57]
	v_fma_f64 v[12:13], v[6:7], s[56:57], -v[4:5]
	v_fmac_f64_e32 v[12:13], s[58:59], v[6:7]
	v_fmac_f64_e32 v[12:13], s[56:57], v[2:3]
	v_add_f64 v[14:15], v[4:5], v[12:13]
	v_add_f64 v[2:3], v[14:15], -v[4:5]
	v_addc_co_u32_e64 v11, s[8:9], 0, v9, s[6:7]
	v_add_f64 v[16:17], v[12:13], -v[2:3]
.LBB0_103:                              ;   in Loop: Header=BB0_34 Depth=1
	s_andn2_saveexec_b64 s[6:7], s[10:11]
	s_cbranch_execz .LBB0_105
; %bb.104:                              ;   in Loop: Header=BB0_34 Depth=1
	v_mul_f64 v[2:3], |v[0:1]|, s[60:61]
	v_rndne_f64_e32 v[2:3], v[2:3]
	s_mov_b32 s62, s56
	v_fma_f64 v[4:5], v[2:3], s[62:63], |v[0:1]|
	v_mul_f64 v[12:13], v[2:3], s[64:65]
	v_add_f64 v[16:17], v[4:5], v[12:13]
	v_fma_f64 v[6:7], s[64:65], v[2:3], v[4:5]
	s_mov_b32 s8, s64
	s_mov_b32 s9, s59
	v_add_f64 v[4:5], v[4:5], -v[16:17]
	v_fma_f64 v[14:15], s[8:9], v[2:3], v[12:13]
	v_add_f64 v[4:5], v[4:5], v[12:13]
	v_add_f64 v[12:13], v[16:17], -v[6:7]
	v_add_f64 v[4:5], v[12:13], v[4:5]
	v_add_f64 v[4:5], v[4:5], -v[14:15]
	v_fmac_f64_e32 v[4:5], s[66:67], v[2:3]
	v_add_f64 v[14:15], v[6:7], v[4:5]
	v_add_f64 v[6:7], v[14:15], -v[6:7]
	v_add_f64 v[16:17], v[4:5], -v[6:7]
	v_cvt_i32_f64_e32 v11, v[2:3]
.LBB0_105:                              ;   in Loop: Header=BB0_34 Depth=1
	s_or_b64 exec, exec, s[6:7]
	v_mul_f64 v[2:3], v[14:15], v[14:15]
	v_pk_mov_b32 v[42:43], v[24:25], v[24:25] op_sel:[0,1]
	v_mul_f64 v[4:5], v[2:3], 0.5
	v_fmac_f64_e32 v[42:43], s[70:71], v[2:3]
	v_pk_mov_b32 v[44:45], v[26:27], v[26:27] op_sel:[0,1]
	v_add_f64 v[6:7], -v[4:5], 1.0
	v_fmac_f64_e32 v[44:45], v[2:3], v[42:43]
	v_pk_mov_b32 v[42:43], v[28:29], v[28:29] op_sel:[0,1]
	v_add_f64 v[12:13], -v[6:7], 1.0
	v_fmac_f64_e32 v[42:43], v[2:3], v[44:45]
	v_pk_mov_b32 v[44:45], v[30:31], v[30:31] op_sel:[0,1]
	v_add_f64 v[4:5], v[12:13], -v[4:5]
	v_fmac_f64_e32 v[44:45], v[2:3], v[42:43]
	v_pk_mov_b32 v[42:43], v[32:33], v[32:33] op_sel:[0,1]
	v_mul_f64 v[12:13], v[2:3], v[2:3]
	v_fmac_f64_e32 v[42:43], v[2:3], v[44:45]
	v_fma_f64 v[4:5], v[14:15], -v[16:17], v[4:5]
	v_fmac_f64_e32 v[4:5], v[12:13], v[42:43]
	v_add_f64 v[4:5], v[6:7], v[4:5]
	v_pk_mov_b32 v[6:7], v[34:35], v[34:35] op_sel:[0,1]
	v_fmac_f64_e32 v[6:7], s[84:85], v[2:3]
	v_pk_mov_b32 v[12:13], v[36:37], v[36:37] op_sel:[0,1]
	v_fmac_f64_e32 v[12:13], v[2:3], v[6:7]
	;; [unrolled: 2-line block ×4, first 2 shown]
	v_mul_f64 v[6:7], v[14:15], -v[2:3]
	v_mul_f64 v[42:43], v[16:17], 0.5
	v_fmac_f64_e32 v[42:43], v[6:7], v[12:13]
	v_fma_f64 v[2:3], v[2:3], v[42:43], -v[16:17]
	v_fmac_f64_e32 v[2:3], s[80:81], v[6:7]
	v_and_b32_e32 v0, 1, v11
	v_add_f64 v[2:3], v[14:15], -v[2:3]
	v_cmp_eq_u32_e64 s[6:7], 0, v0
	v_cndmask_b32_e64 v0, v4, v2, s[6:7]
	v_cndmask_b32_e64 v2, v5, v3, s[6:7]
	v_lshlrev_b32_e32 v3, 30, v11
	v_xor_b32_e32 v1, v3, v1
	v_and_b32_e32 v1, 0x80000000, v1
	v_xor_b32_e32 v1, v2, v1
	v_readlane_b32 s8, v127, 12
	v_cndmask_b32_e32 v0, 0, v0, vcc
	v_cndmask_b32_e64 v1, v76, -v1, vcc
	v_readlane_b32 s10, v127, 14
	buffer_store_dword v0, off, s[0:3], 0 offset:56
	buffer_store_dword v1, off, s[0:3], 0 offset:60
	v_mad_u64_u32 v[0:1], s[6:7], v8, s10, v[10:11]
	v_cndmask_b32_e64 v1, 0, 1, s[4:5]
	v_sub_u32_e32 v0, v0, v1
	v_ashrrev_i32_e32 v1, 31, v0
	v_readlane_b32 s4, v127, 4
	v_lshlrev_b64 v[0:1], 5, v[0:1]
	v_readlane_b32 s5, v127, 5
	v_add_co_u32_e32 v4, vcc, s4, v0
	v_mov_b32_e32 v0, s5
	v_addc_co_u32_e32 v5, vcc, v0, v1, vcc
	global_load_dwordx4 v[0:3], v[4:5], off offset:16
	s_nop 0
	global_load_dwordx4 v[4:7], v[4:5], off
	v_readlane_b32 s9, v127, 13
	v_readlane_b32 s11, v127, 15
	s_waitcnt vmcnt(1)
	v_mul_f64 v[0:1], v[18:19], v[0:1]
	s_waitcnt vmcnt(0)
	v_mul_f64 v[94:95], v[18:19], v[4:5]
	v_mul_f64 v[96:97], v[18:19], v[6:7]
	v_cmp_lt_i32_e32 vcc, v2, v3
	s_and_saveexec_b64 s[40:41], vcc
	s_cbranch_execz .LBB0_32
; %bb.106:                              ;   in Loop: Header=BB0_34 Depth=1
	v_readlane_b32 s4, v127, 12
	v_readlane_b32 s5, v127, 13
	v_mul_lo_u32 v57, v8, s5
	s_mov_b64 s[96:97], 0
	v_readlane_b32 s6, v127, 14
	v_readlane_b32 s7, v127, 15
	buffer_store_dword v80, off, s[0:3], 0 offset:216 ; 4-byte Folded Spill
	s_nop 0
	buffer_store_dword v81, off, s[0:3], 0 offset:220 ; 4-byte Folded Spill
	s_branch .LBB0_108
.LBB0_107:                              ;   in Loop: Header=BB0_108 Depth=2
	s_or_b64 exec, exec, s[48:49]
	s_waitcnt vmcnt(0)
	v_bfe_i32 v16, v58, 0, 16
	v_lshl_add_u32 v43, v16, 4, v53
	buffer_load_dword v16, v43, s[0:3], 0 offen
	buffer_load_dword v17, v43, s[0:3], 0 offen offset:4
	buffer_load_dword v42, v43, s[0:3], 0 offen offset:8
	s_nop 0
	buffer_load_dword v43, v43, s[0:3], 0 offen offset:12
	v_mul_f64 v[10:11], v[10:11], v[44:45]
	v_mul_f64 v[6:7], v[6:7], v[44:45]
	v_add_u32_e32 v2, 1, v2
	v_fma_f64 v[8:9], v[8:9], v[46:47], -v[10:11]
	v_fma_f64 v[4:5], v[4:5], v[46:47], -v[6:7]
	v_cmp_ge_i32_e32 vcc, v2, v3
	v_add_f64 v[96:97], v[96:97], v[8:9]
	v_add_f64 v[0:1], v[0:1], v[4:5]
	s_or_b64 s[96:97], vcc, s[96:97]
	s_waitcnt vmcnt(0)
	v_mul_f64 v[48:49], v[44:45], v[42:43]
	v_mul_f64 v[42:43], v[46:47], v[42:43]
	v_fmac_f64_e32 v[42:43], v[44:45], v[16:17]
	v_fma_f64 v[48:49], v[46:47], v[16:17], -v[48:49]
	v_mul_f64 v[14:15], v[14:15], v[42:43]
	v_fma_f64 v[12:13], v[12:13], v[48:49], -v[14:15]
	v_add_f64 v[94:95], v[94:95], v[12:13]
	s_andn2_b64 exec, exec, s[96:97]
	s_cbranch_execz .LBB0_31
.LBB0_108:                              ;   Parent Loop BB0_34 Depth=1
                                        ; =>  This Loop Header: Depth=2
                                        ;       Child Loop BB0_120 Depth 3
	v_add_u32_e32 v6, v2, v57
	v_pk_mov_b32 v[4:5], s[30:31], s[30:31] op_sel:[0,1]
	v_mad_i64_i32 v[16:17], s[4:5], v6, s98, v[4:5]
	global_load_dwordx4 v[42:45], v[16:17], off
	global_load_dwordx4 v[12:15], v[16:17], off offset:16
	global_load_dwordx4 v[4:7], v[16:17], off offset:48
	;; [unrolled: 1-line block ×3, first 2 shown]
	global_load_ushort v58, v[16:17], off offset:64
	s_waitcnt vmcnt(4)
	v_add_f64 v[16:17], v[18:19], -v[42:43]
	v_add_f64 v[42:43], -v[44:45], 0
	v_mul_f64 v[100:101], v[42:43], 0.5
	v_mul_f64 v[44:45], v[42:43], 0
	v_fmac_f64_e32 v[100:101], 0, v[16:17]
	v_fma_f64 v[98:99], v[16:17], 0.5, -v[44:45]
	v_mul_f64 v[42:43], v[100:101], v[100:101]
	v_fma_f64 v[44:45], v[98:99], v[98:99], v[42:43]
	v_cmp_gt_f64_e32 vcc, s[46:47], v[44:45]
	v_cndmask_b32_e64 v46, 0, 1, vcc
	v_lshlrev_b32_e32 v46, 8, v46
	v_ldexp_f64 v[44:45], v[44:45], v46
	v_rsq_f64_e32 v[46:47], v[44:45]
	v_mul_f64 v[16:17], v[98:99], v[98:99]
	v_add_f64 v[42:43], v[16:17], -v[42:43]
	v_cndmask_b32_e32 v59, 0, v126, vcc
	v_mul_f64 v[16:17], v[44:45], v[46:47]
	v_mul_f64 v[46:47], v[46:47], 0.5
	v_fma_f64 v[50:51], -v[46:47], v[16:17], 0.5
	v_fmac_f64_e32 v[16:17], v[16:17], v[50:51]
	v_fmac_f64_e32 v[46:47], v[46:47], v[50:51]
	v_fma_f64 v[50:51], -v[16:17], v[16:17], v[44:45]
	v_fmac_f64_e32 v[16:17], v[50:51], v[46:47]
	v_fma_f64 v[50:51], -v[16:17], v[16:17], v[44:45]
	v_fmac_f64_e32 v[16:17], v[50:51], v[46:47]
	v_ldexp_f64 v[16:17], v[16:17], v59
	v_cmp_class_f64_e32 vcc, v[44:45], v52
	v_mul_f64 v[48:49], v[98:99], v[100:101]
	v_cndmask_b32_e32 v17, v17, v45, vcc
	v_cndmask_b32_e32 v16, v16, v44, vcc
	v_cmp_ngt_f64_e32 vcc, s[42:43], v[16:17]
	v_add_f64 v[16:17], v[48:49], v[48:49]
                                        ; implicit-def: $vgpr44_vgpr45
                                        ; implicit-def: $vgpr46_vgpr47
	s_and_saveexec_b64 s[4:5], vcc
	s_xor_b64 s[4:5], exec, s[4:5]
	s_cbranch_execz .LBB0_110
; %bb.109:                              ;   in Loop: Header=BB0_108 Depth=2
	s_mov_b32 s6, 0xafdb7b46
	s_mov_b32 s7, 0xbfd19dc7
	v_add_f64 v[48:49], v[42:43], s[6:7]
	v_mul_f64 v[46:47], v[16:17], v[16:17]
	v_mul_f64 v[60:61], v[16:17], 0
	v_fma_f64 v[50:51], v[48:49], v[48:49], v[46:47]
	v_fma_f64 v[62:63], s[26:27], v[48:49], v[60:61]
	v_div_scale_f64 v[64:65], s[6:7], v[50:51], v[50:51], v[62:63]
	v_rcp_f64_e32 v[66:67], v[64:65]
	v_add_f64 v[42:43], v[42:43], s[28:29]
	v_fmac_f64_e32 v[46:47], v[42:43], v[42:43]
	v_fmac_f64_e32 v[60:61], s[36:37], v[42:43]
	v_fma_f64 v[70:71], -v[64:65], v[66:67], 1.0
	v_fmac_f64_e32 v[66:67], v[66:67], v[70:71]
	v_fma_f64 v[70:71], -v[64:65], v[66:67], 1.0
	v_fmac_f64_e32 v[66:67], v[66:67], v[70:71]
	v_div_scale_f64 v[70:71], vcc, v[62:63], v[50:51], v[62:63]
	v_mul_f64 v[72:73], v[70:71], v[66:67]
	v_fma_f64 v[64:65], -v[64:65], v[72:73], v[70:71]
	v_fma_f64 v[44:45], v[98:99], 0, -v[100:101]
	s_nop 0
	v_div_fmas_f64 v[64:65], v[64:65], v[66:67], v[72:73]
	v_div_fixup_f64 v[62:63], v[64:65], v[50:51], v[62:63]
	v_mul_f64 v[64:65], v[16:17], s[26:27]
	v_fma_f64 v[48:49], v[48:49], 0, -v[64:65]
	v_div_scale_f64 v[64:65], s[6:7], v[50:51], v[50:51], v[48:49]
	v_rcp_f64_e32 v[66:67], v[64:65]
	v_mul_f64 v[16:17], v[16:17], s[36:37]
	v_fma_f64 v[16:17], v[42:43], 0, -v[16:17]
	v_div_scale_f64 v[42:43], s[6:7], v[46:47], v[46:47], v[16:17]
	v_fma_f64 v[70:71], -v[64:65], v[66:67], 1.0
	v_fmac_f64_e32 v[66:67], v[66:67], v[70:71]
	v_fma_f64 v[70:71], -v[64:65], v[66:67], 1.0
	v_fmac_f64_e32 v[66:67], v[66:67], v[70:71]
	v_div_scale_f64 v[70:71], vcc, v[48:49], v[50:51], v[48:49]
	v_mul_f64 v[72:73], v[70:71], v[66:67]
	v_fma_f64 v[64:65], -v[64:65], v[72:73], v[70:71]
	v_fmac_f64_e32 v[98:99], 0, v[100:101]
	s_nop 0
	v_div_fmas_f64 v[64:65], v[64:65], v[66:67], v[72:73]
	v_div_fixup_f64 v[48:49], v[64:65], v[50:51], v[48:49]
	v_div_scale_f64 v[50:51], s[6:7], v[46:47], v[46:47], v[60:61]
	v_rcp_f64_e32 v[64:65], v[50:51]
                                        ; implicit-def: $vgpr100_vgpr101
	v_fma_f64 v[66:67], -v[50:51], v[64:65], 1.0
	v_fmac_f64_e32 v[64:65], v[64:65], v[66:67]
	v_fma_f64 v[66:67], -v[50:51], v[64:65], 1.0
	v_fmac_f64_e32 v[64:65], v[64:65], v[66:67]
	v_div_scale_f64 v[66:67], vcc, v[60:61], v[46:47], v[60:61]
	v_mul_f64 v[70:71], v[66:67], v[64:65]
	v_fma_f64 v[50:51], -v[50:51], v[70:71], v[66:67]
	s_nop 1
	v_div_fmas_f64 v[50:51], v[50:51], v[64:65], v[70:71]
	v_div_fixup_f64 v[50:51], v[50:51], v[46:47], v[60:61]
	v_rcp_f64_e32 v[60:61], v[42:43]
	v_fma_f64 v[64:65], -v[42:43], v[60:61], 1.0
	v_fmac_f64_e32 v[60:61], v[60:61], v[64:65]
	v_fma_f64 v[64:65], -v[42:43], v[60:61], 1.0
	v_fmac_f64_e32 v[60:61], v[60:61], v[64:65]
	v_div_scale_f64 v[64:65], vcc, v[16:17], v[46:47], v[16:17]
	v_mul_f64 v[66:67], v[64:65], v[60:61]
	v_fma_f64 v[42:43], -v[42:43], v[66:67], v[64:65]
	s_nop 1
	v_div_fmas_f64 v[42:43], v[42:43], v[60:61], v[66:67]
	v_div_fixup_f64 v[16:17], v[42:43], v[46:47], v[16:17]
	v_add_f64 v[16:17], v[48:49], v[16:17]
	v_add_f64 v[42:43], v[62:63], v[50:51]
	v_mul_f64 v[46:47], v[98:99], v[16:17]
	v_fma_f64 v[46:47], v[44:45], v[42:43], -v[46:47]
	v_mul_f64 v[44:45], v[44:45], v[16:17]
	v_fmac_f64_e32 v[44:45], v[98:99], v[42:43]
                                        ; implicit-def: $vgpr98_vgpr99
                                        ; implicit-def: $vgpr16_vgpr17
                                        ; implicit-def: $vgpr42_vgpr43
.LBB0_110:                              ;   in Loop: Header=BB0_108 Depth=2
	s_andn2_saveexec_b64 s[48:49], s[4:5]
	s_cbranch_execz .LBB0_107
; %bb.111:                              ;   in Loop: Header=BB0_108 Depth=2
	v_mul_f64 v[102:103], v[100:101], 0
	v_pk_mov_b32 v[104:105], v[102:103], v[102:103] op_sel:[0,1]
	v_fmac_f64_e32 v[104:105], 0x40280000, v[98:99]
	v_cmp_lt_f64_e64 vcc, |v[104:105]|, s[50:51]
	v_cmp_nlt_f64_e64 s[8:9], |v[104:105]|, s[50:51]
	v_and_b32_e32 v61, 0x7fffffff, v105
	v_trig_preop_f64 v[48:49], |v[104:105]|, 0
	v_trig_preop_f64 v[44:45], |v[104:105]|, 1
	v_ldexp_f64 v[86:87], |v[104:105]|, s94
	v_trig_preop_f64 v[46:47], |v[104:105]|, 2
                                        ; implicit-def: $vgpr59
                                        ; implicit-def: $vgpr106_vgpr107
                                        ; implicit-def: $vgpr108_vgpr109
	s_and_saveexec_b64 s[4:5], s[8:9]
	s_xor_b64 s[10:11], exec, s[4:5]
	s_cbranch_execz .LBB0_113
; %bb.112:                              ;   in Loop: Header=BB0_108 Depth=2
	v_ldexp_f64 v[92:93], |v[104:105]|, s94
	v_cmp_ge_f64_e64 s[4:5], |v[104:105]|, s[52:53]
	v_trig_preop_f64 v[50:51], |v[104:105]|, 0
	v_cndmask_b32_e64 v93, v61, v93, s[4:5]
	v_cndmask_b32_e64 v92, v104, v92, s[4:5]
	v_trig_preop_f64 v[62:63], |v[104:105]|, 1
	v_mul_f64 v[108:109], v[50:51], v[92:93]
	v_mul_f64 v[106:107], v[62:63], v[92:93]
	v_fma_f64 v[50:51], v[50:51], v[92:93], -v[108:109]
	v_add_f64 v[110:111], v[106:107], v[50:51]
	v_add_f64 v[112:113], v[108:109], v[110:111]
	v_ldexp_f64 v[114:115], v[112:113], -2
	v_fract_f64_e32 v[116:117], v[114:115]
	v_cmp_neq_f64_e64 s[4:5], |v[114:115]|, s[54:55]
	v_cndmask_b32_e64 v115, 0, v117, s[4:5]
	v_cndmask_b32_e64 v114, 0, v116, s[4:5]
	v_add_f64 v[116:117], v[110:111], -v[106:107]
	v_add_f64 v[50:51], v[50:51], -v[116:117]
	v_add_f64 v[116:117], v[110:111], -v[116:117]
	v_add_f64 v[116:117], v[106:107], -v[116:117]
	v_fma_f64 v[62:63], v[62:63], v[92:93], -v[106:107]
	v_trig_preop_f64 v[106:107], |v[104:105]|, 2
	v_add_f64 v[50:51], v[50:51], v[116:117]
	v_mul_f64 v[116:117], v[106:107], v[92:93]
	v_add_f64 v[118:119], v[116:117], v[62:63]
	v_add_f64 v[120:121], v[118:119], v[50:51]
	v_add_f64 v[108:109], v[112:113], -v[108:109]
	v_add_f64 v[112:113], v[120:121], -v[118:119]
	;; [unrolled: 1-line block ×5, first 2 shown]
	v_add_f64 v[50:51], v[50:51], v[112:113]
	v_add_f64 v[112:113], v[118:119], -v[116:117]
	v_add_f64 v[62:63], v[62:63], -v[112:113]
	;; [unrolled: 1-line block ×4, first 2 shown]
	v_add_f64 v[62:63], v[62:63], v[112:113]
	v_add_f64 v[108:109], v[110:111], -v[108:109]
	v_add_f64 v[50:51], v[62:63], v[50:51]
	v_fma_f64 v[62:63], v[106:107], v[92:93], -v[116:117]
	v_add_f64 v[110:111], v[108:109], v[120:121]
	v_add_f64 v[50:51], v[62:63], v[50:51]
	v_ldexp_f64 v[62:63], v[114:115], 2
	v_add_f64 v[92:93], v[110:111], v[62:63]
	v_cmp_gt_f64_e64 s[4:5], 0, v[92:93]
	v_cndmask_b32_e64 v91, 0, v54, s[4:5]
	v_add_f64 v[62:63], v[62:63], v[90:91]
	v_add_f64 v[92:93], v[110:111], v[62:63]
	v_cvt_i32_f64_e32 v59, v[92:93]
	v_cvt_f64_i32_e32 v[92:93], v59
	v_add_f64 v[62:63], v[62:63], -v[92:93]
	v_add_f64 v[108:109], v[110:111], -v[108:109]
	v_add_f64 v[92:93], v[110:111], v[62:63]
	v_add_f64 v[108:109], v[120:121], -v[108:109]
	v_add_f64 v[62:63], v[92:93], -v[62:63]
	v_cmp_le_f64_e64 s[4:5], 0.5, v[92:93]
	v_add_f64 v[50:51], v[108:109], v[50:51]
	v_add_f64 v[62:63], v[110:111], -v[62:63]
	v_cndmask_b32_e64 v91, 0, v55, s[4:5]
	v_add_f64 v[50:51], v[50:51], v[62:63]
	v_add_f64 v[62:63], v[92:93], -v[90:91]
	v_add_f64 v[92:93], v[62:63], v[50:51]
	v_add_f64 v[62:63], v[92:93], -v[62:63]
	v_add_f64 v[50:51], v[50:51], -v[62:63]
	v_mul_f64 v[62:63], v[92:93], s[56:57]
	v_fma_f64 v[108:109], v[92:93], s[56:57], -v[62:63]
	v_fmac_f64_e32 v[108:109], s[58:59], v[92:93]
	v_fmac_f64_e32 v[108:109], s[56:57], v[50:51]
	v_add_f64 v[106:107], v[62:63], v[108:109]
	v_add_f64 v[50:51], v[106:107], -v[62:63]
	v_addc_co_u32_e64 v59, s[6:7], 0, v59, s[4:5]
	v_add_f64 v[108:109], v[108:109], -v[50:51]
	s_andn2_saveexec_b64 s[4:5], s[10:11]
	s_cbranch_execz .LBB0_115
	s_branch .LBB0_114
.LBB0_113:                              ;   in Loop: Header=BB0_108 Depth=2
	s_andn2_saveexec_b64 s[4:5], s[10:11]
	s_cbranch_execz .LBB0_115
.LBB0_114:                              ;   in Loop: Header=BB0_108 Depth=2
	v_mul_f64 v[50:51], |v[104:105]|, s[60:61]
	v_rndne_f64_e32 v[50:51], v[50:51]
	s_mov_b32 s62, s56
	v_fma_f64 v[62:63], v[50:51], s[62:63], |v[104:105]|
	v_mul_f64 v[106:107], v[50:51], s[64:65]
	v_add_f64 v[110:111], v[62:63], v[106:107]
	v_fma_f64 v[92:93], s[64:65], v[50:51], v[62:63]
	s_mov_b32 s6, s64
	s_mov_b32 s7, s59
	v_add_f64 v[62:63], v[62:63], -v[110:111]
	v_fma_f64 v[108:109], s[6:7], v[50:51], v[106:107]
	v_add_f64 v[62:63], v[62:63], v[106:107]
	v_add_f64 v[106:107], v[110:111], -v[92:93]
	v_add_f64 v[62:63], v[106:107], v[62:63]
	v_add_f64 v[62:63], v[62:63], -v[108:109]
	v_fmac_f64_e32 v[62:63], s[66:67], v[50:51]
	v_add_f64 v[106:107], v[92:93], v[62:63]
	v_add_f64 v[92:93], v[106:107], -v[92:93]
	v_add_f64 v[108:109], v[62:63], -v[92:93]
	v_cvt_i32_f64_e32 v59, v[50:51]
.LBB0_115:                              ;   in Loop: Header=BB0_108 Depth=2
	s_or_b64 exec, exec, s[4:5]
                                        ; implicit-def: $vgpr62
                                        ; implicit-def: $vgpr110_vgpr111
                                        ; implicit-def: $vgpr50_vgpr51
                                        ; implicit-def: $vgpr92_vgpr93
                                        ; implicit-def: $vgpr112_vgpr113
                                        ; implicit-def: $vgpr60
	s_and_saveexec_b64 s[4:5], s[8:9]
	s_xor_b64 s[8:9], exec, s[4:5]
	s_cbranch_execz .LBB0_117
; %bb.116:                              ;   in Loop: Header=BB0_108 Depth=2
	v_ldexp_f64 v[86:87], |v[104:105]|, s94
	v_cmp_ge_f64_e64 s[4:5], |v[104:105]|, s[52:53]
	v_trig_preop_f64 v[48:49], |v[104:105]|, 0
	v_cndmask_b32_e64 v51, v61, v87, s[4:5]
	v_cndmask_b32_e64 v50, v104, v86, s[4:5]
	v_trig_preop_f64 v[44:45], |v[104:105]|, 1
	v_mul_f64 v[62:63], v[48:49], v[50:51]
	v_mul_f64 v[46:47], v[44:45], v[50:51]
	v_fma_f64 v[92:93], v[48:49], v[50:51], -v[62:63]
	v_add_f64 v[110:111], v[46:47], v[92:93]
	v_add_f64 v[112:113], v[62:63], v[110:111]
	v_ldexp_f64 v[114:115], v[112:113], -2
	v_fract_f64_e32 v[116:117], v[114:115]
	v_cmp_neq_f64_e64 s[4:5], |v[114:115]|, s[54:55]
	v_cndmask_b32_e64 v115, 0, v117, s[4:5]
	v_cndmask_b32_e64 v114, 0, v116, s[4:5]
	v_add_f64 v[116:117], v[110:111], -v[46:47]
	v_add_f64 v[92:93], v[92:93], -v[116:117]
	;; [unrolled: 1-line block ×4, first 2 shown]
	v_add_f64 v[92:93], v[92:93], v[116:117]
	v_fma_f64 v[116:117], v[44:45], v[50:51], -v[46:47]
	v_trig_preop_f64 v[46:47], |v[104:105]|, 2
	v_mul_f64 v[118:119], v[46:47], v[50:51]
	v_add_f64 v[120:121], v[118:119], v[116:117]
	v_add_f64 v[122:123], v[120:121], v[92:93]
	v_add_f64 v[62:63], v[112:113], -v[62:63]
	v_add_f64 v[112:113], v[122:123], -v[120:121]
	;; [unrolled: 1-line block ×5, first 2 shown]
	v_add_f64 v[92:93], v[92:93], v[112:113]
	v_add_f64 v[112:113], v[120:121], -v[118:119]
	v_add_f64 v[116:117], v[116:117], -v[112:113]
	;; [unrolled: 1-line block ×5, first 2 shown]
	v_add_f64 v[110:111], v[62:63], v[122:123]
	v_add_f64 v[112:113], v[116:117], v[112:113]
	v_add_f64 v[62:63], v[110:111], -v[62:63]
	v_add_f64 v[92:93], v[112:113], v[92:93]
	v_fma_f64 v[50:51], v[46:47], v[50:51], -v[118:119]
	v_add_f64 v[62:63], v[122:123], -v[62:63]
	v_add_f64 v[50:51], v[50:51], v[92:93]
	v_add_f64 v[50:51], v[62:63], v[50:51]
	v_ldexp_f64 v[62:63], v[114:115], 2
	v_add_f64 v[92:93], v[110:111], v[62:63]
	v_cmp_gt_f64_e64 s[4:5], 0, v[92:93]
	v_cndmask_b32_e64 v91, 0, v54, s[4:5]
	v_add_f64 v[62:63], v[62:63], v[90:91]
	v_add_f64 v[92:93], v[110:111], v[62:63]
	v_cvt_i32_f64_e32 v60, v[92:93]
	v_cvt_f64_i32_e32 v[92:93], v60
	v_add_f64 v[62:63], v[62:63], -v[92:93]
	v_add_f64 v[92:93], v[110:111], v[62:63]
	v_add_f64 v[62:63], v[92:93], -v[62:63]
	v_cmp_le_f64_e64 s[4:5], 0.5, v[92:93]
	v_add_f64 v[62:63], v[110:111], -v[62:63]
	v_cndmask_b32_e64 v91, 0, v55, s[4:5]
	v_add_f64 v[50:51], v[50:51], v[62:63]
	v_add_f64 v[92:93], v[92:93], -v[90:91]
	v_add_f64 v[110:111], v[92:93], v[50:51]
	v_add_f64 v[92:93], v[110:111], -v[92:93]
	v_add_f64 v[50:51], v[50:51], -v[92:93]
	v_mul_f64 v[92:93], v[110:111], s[56:57]
	v_fma_f64 v[112:113], v[110:111], s[56:57], -v[92:93]
	v_fmac_f64_e32 v[112:113], s[58:59], v[110:111]
	v_fmac_f64_e32 v[112:113], s[56:57], v[50:51]
	v_add_f64 v[110:111], v[92:93], v[112:113]
	v_add_f64 v[50:51], v[110:111], -v[92:93]
	v_mul_f64 v[92:93], |v[104:105]|, s[60:61]
	v_rndne_f64_e32 v[114:115], v[92:93]
	s_mov_b32 s62, s56
	v_fma_f64 v[92:93], v[114:115], s[62:63], |v[104:105]|
	v_mul_f64 v[116:117], v[114:115], s[64:65]
	v_add_f64 v[120:121], v[92:93], v[116:117]
	v_addc_co_u32_e64 v62, s[6:7], 0, v60, s[4:5]
	v_add_f64 v[50:51], v[112:113], -v[50:51]
	v_fma_f64 v[112:113], s[64:65], v[114:115], v[92:93]
	s_mov_b32 s4, s64
	s_mov_b32 s5, s59
	v_add_f64 v[92:93], v[92:93], -v[120:121]
	v_fma_f64 v[118:119], s[4:5], v[114:115], v[116:117]
	v_add_f64 v[92:93], v[92:93], v[116:117]
	v_add_f64 v[116:117], v[120:121], -v[112:113]
	v_add_f64 v[92:93], v[116:117], v[92:93]
	v_add_f64 v[116:117], v[92:93], -v[118:119]
	v_fmac_f64_e32 v[116:117], s[66:67], v[114:115]
	v_add_f64 v[92:93], v[112:113], v[116:117]
	v_add_f64 v[112:113], v[92:93], -v[112:113]
	v_add_f64 v[112:113], v[116:117], -v[112:113]
	v_cvt_i32_f64_e32 v60, v[114:115]
	s_andn2_saveexec_b64 s[4:5], s[8:9]
	s_cbranch_execnz .LBB0_118
	s_branch .LBB0_119
.LBB0_117:                              ;   in Loop: Header=BB0_108 Depth=2
	s_andn2_saveexec_b64 s[4:5], s[8:9]
	s_cbranch_execz .LBB0_119
.LBB0_118:                              ;   in Loop: Header=BB0_108 Depth=2
	v_mul_f64 v[50:51], |v[104:105]|, s[60:61]
	v_rndne_f64_e32 v[50:51], v[50:51]
	s_mov_b32 s62, s56
	v_fma_f64 v[62:63], v[50:51], s[62:63], |v[104:105]|
	v_mul_f64 v[92:93], v[50:51], s[64:65]
	v_add_f64 v[114:115], v[62:63], v[92:93]
	v_fma_f64 v[110:111], s[64:65], v[50:51], v[62:63]
	s_mov_b32 s6, s64
	s_mov_b32 s7, s59
	v_add_f64 v[62:63], v[62:63], -v[114:115]
	v_fma_f64 v[112:113], s[6:7], v[50:51], v[92:93]
	v_add_f64 v[62:63], v[62:63], v[92:93]
	v_add_f64 v[92:93], v[114:115], -v[110:111]
	v_add_f64 v[62:63], v[92:93], v[62:63]
	v_add_f64 v[62:63], v[62:63], -v[112:113]
	v_fmac_f64_e32 v[62:63], s[66:67], v[50:51]
	v_add_f64 v[92:93], v[110:111], v[62:63]
	v_add_f64 v[110:111], v[92:93], -v[110:111]
	v_add_f64 v[112:113], v[62:63], -v[110:111]
	v_cvt_i32_f64_e32 v60, v[50:51]
	v_pk_mov_b32 v[50:51], v[112:113], v[112:113] op_sel:[0,1]
	v_pk_mov_b32 v[110:111], v[92:93], v[92:93] op_sel:[0,1]
	v_mov_b32_e32 v62, v60
.LBB0_119:                              ;   in Loop: Header=BB0_108 Depth=2
	s_or_b64 exec, exec, s[4:5]
	v_mul_f64 v[122:123], v[16:17], 0
	v_mul_f64 v[16:17], v[16:17], s[14:15]
	v_cmp_ge_f64_e64 s[6:7], |v[104:105]|, s[52:53]
	v_fma_f64 v[122:123], v[42:43], s[14:15], -v[122:123]
	v_fmac_f64_e32 v[16:17], 0, v[42:43]
	v_cndmask_b32_e64 v43, v61, v87, s[6:7]
	v_cndmask_b32_e64 v42, v104, v86, s[6:7]
	v_mul_f64 v[64:65], v[42:43], v[48:49]
	v_mul_f64 v[86:87], v[44:45], v[42:43]
	v_fma_f64 v[48:49], v[48:49], v[42:43], -v[64:65]
	v_add_f64 v[66:67], v[86:87], v[48:49]
	v_add_f64 v[70:71], v[64:65], v[66:67]
	v_ldexp_f64 v[72:73], v[70:71], -2
	v_fract_f64_e32 v[74:75], v[72:73]
	v_cmp_neq_f64_e64 s[6:7], |v[72:73]|, s[54:55]
	v_cndmask_b32_e64 v73, 0, v75, s[6:7]
	v_cndmask_b32_e64 v72, 0, v74, s[6:7]
	v_add_f64 v[74:75], v[66:67], -v[86:87]
	v_add_f64 v[48:49], v[48:49], -v[74:75]
	;; [unrolled: 1-line block ×4, first 2 shown]
	v_add_f64 v[48:49], v[48:49], v[74:75]
	v_fma_f64 v[44:45], v[44:45], v[42:43], -v[86:87]
	v_mul_f64 v[74:75], v[46:47], v[42:43]
	v_add_f64 v[86:87], v[74:75], v[44:45]
	v_add_f64 v[76:77], v[86:87], v[48:49]
	v_add_f64 v[64:65], v[70:71], -v[64:65]
	v_add_f64 v[70:71], v[76:77], -v[86:87]
	;; [unrolled: 1-line block ×5, first 2 shown]
	v_add_f64 v[48:49], v[48:49], v[70:71]
	v_add_f64 v[70:71], v[86:87], -v[74:75]
	v_add_f64 v[44:45], v[44:45], -v[70:71]
	;; [unrolled: 1-line block ×4, first 2 shown]
	v_add_f64 v[44:45], v[44:45], v[70:71]
	v_add_f64 v[64:65], v[66:67], -v[64:65]
	v_add_f64 v[44:45], v[44:45], v[48:49]
	v_fma_f64 v[42:43], v[46:47], v[42:43], -v[74:75]
	v_add_f64 v[66:67], v[64:65], v[76:77]
	v_add_f64 v[42:43], v[42:43], v[44:45]
	v_ldexp_f64 v[44:45], v[72:73], 2
	v_add_f64 v[46:47], v[66:67], v[44:45]
	v_cmp_gt_f64_e64 s[6:7], 0, v[46:47]
	v_cndmask_b32_e64 v91, 0, v54, s[6:7]
	v_add_f64 v[44:45], v[44:45], v[90:91]
	v_add_f64 v[46:47], v[66:67], v[44:45]
	v_cvt_i32_f64_e32 v48, v[46:47]
	v_cvt_f64_i32_e32 v[46:47], v48
	v_add_f64 v[44:45], v[44:45], -v[46:47]
	v_add_f64 v[64:65], v[66:67], -v[64:65]
	v_add_f64 v[46:47], v[66:67], v[44:45]
	v_add_f64 v[64:65], v[76:77], -v[64:65]
	v_add_f64 v[44:45], v[46:47], -v[44:45]
	v_cmp_le_f64_e64 s[6:7], 0.5, v[46:47]
	v_add_f64 v[42:43], v[64:65], v[42:43]
	v_add_f64 v[44:45], v[66:67], -v[44:45]
	v_cndmask_b32_e64 v91, 0, v55, s[6:7]
	v_add_f64 v[42:43], v[42:43], v[44:45]
	v_add_f64 v[44:45], v[46:47], -v[90:91]
	v_add_f64 v[46:47], v[44:45], v[42:43]
	v_add_f64 v[44:45], v[46:47], -v[44:45]
	v_add_f64 v[42:43], v[42:43], -v[44:45]
	v_mul_f64 v[44:45], v[46:47], s[56:57]
	v_addc_co_u32_e64 v61, s[8:9], 0, v48, s[6:7]
	v_fma_f64 v[48:49], v[46:47], s[56:57], -v[44:45]
	v_fmac_f64_e32 v[48:49], s[58:59], v[46:47]
	v_fmac_f64_e32 v[48:49], s[56:57], v[42:43]
	v_add_f64 v[42:43], v[44:45], v[48:49]
	v_add_f64 v[44:45], v[42:43], -v[44:45]
	v_cndmask_b32_e32 v63, v61, v60, vcc
	v_add_f64 v[44:45], v[48:49], -v[44:45]
	v_cndmask_b32_e32 v43, v43, v93, vcc
	v_cndmask_b32_e32 v42, v42, v92, vcc
	v_and_b32_e32 v46, 1, v63
	v_cndmask_b32_e32 v45, v45, v113, vcc
	v_cndmask_b32_e32 v44, v44, v112, vcc
	v_cmp_eq_u32_e32 vcc, 0, v46
	v_mul_f64 v[46:47], v[42:43], v[42:43]
	v_pk_mov_b32 v[66:67], v[24:25], v[24:25] op_sel:[0,1]
	v_fmac_f64_e32 v[66:67], s[70:71], v[46:47]
	v_pk_mov_b32 v[70:71], v[26:27], v[26:27] op_sel:[0,1]
	v_fmac_f64_e32 v[70:71], v[46:47], v[66:67]
	v_pk_mov_b32 v[66:67], v[28:29], v[28:29] op_sel:[0,1]
	v_mul_f64 v[48:49], v[46:47], 0.5
	v_fmac_f64_e32 v[66:67], v[46:47], v[70:71]
	v_pk_mov_b32 v[70:71], v[30:31], v[30:31] op_sel:[0,1]
	v_add_f64 v[60:61], -v[48:49], 1.0
	v_fmac_f64_e32 v[70:71], v[46:47], v[66:67]
	v_pk_mov_b32 v[66:67], v[32:33], v[32:33] op_sel:[0,1]
	v_fmac_f64_e32 v[66:67], v[46:47], v[70:71]
	v_add_f64 v[70:71], -v[60:61], 1.0
	v_add_f64 v[48:49], v[70:71], -v[48:49]
	v_mul_f64 v[64:65], v[46:47], v[46:47]
	v_fma_f64 v[48:49], v[42:43], -v[44:45], v[48:49]
	v_fmac_f64_e32 v[48:49], v[64:65], v[66:67]
	v_pk_mov_b32 v[64:65], v[34:35], v[34:35] op_sel:[0,1]
	v_mul_f64 v[118:119], v[100:101], s[38:39]
	v_fmac_f64_e32 v[64:65], s[84:85], v[46:47]
	v_pk_mov_b32 v[66:67], v[36:37], v[36:37] op_sel:[0,1]
	v_fma_f64 v[120:121], v[98:99], 0, -v[118:119]
	v_fmac_f64_e32 v[66:67], v[46:47], v[64:65]
	v_pk_mov_b32 v[64:65], v[38:39], v[38:39] op_sel:[0,1]
	v_fma_f64 v[120:121], v[120:121], s[12:13], 1.0
	v_fmac_f64_e32 v[64:65], v[46:47], v[66:67]
	v_pk_mov_b32 v[66:67], v[40:41], v[40:41] op_sel:[0,1]
	v_mul_f64 v[120:121], v[120:121], v[120:121]
	v_add_f64 v[48:49], v[60:61], v[48:49]
	v_mul_f64 v[60:61], v[42:43], -v[46:47]
	v_fmac_f64_e32 v[66:67], v[46:47], v[64:65]
	v_mul_f64 v[64:65], v[44:45], 0.5
	v_mul_f64 v[120:121], v[120:121], v[120:121]
	v_fmac_f64_e32 v[64:65], v[60:61], v[66:67]
	v_mul_f64 v[120:121], v[120:121], v[120:121]
	v_fma_f64 v[44:45], v[46:47], v[64:65], -v[44:45]
	v_mul_f64 v[120:121], v[120:121], v[120:121]
	v_fmac_f64_e32 v[44:45], s[80:81], v[60:61]
	v_mul_f64 v[120:121], v[120:121], v[120:121]
	v_add_f64 v[42:43], v[42:43], -v[44:45]
	v_mul_f64 v[120:121], v[120:121], v[120:121]
	v_xor_b32_e32 v44, 0x80000000, v43
	v_lshlrev_b32_e32 v60, 30, v63
	v_mul_f64 v[120:121], v[120:121], v[120:121]
	v_cndmask_b32_e32 v44, v44, v49, vcc
	v_and_b32_e32 v46, 0x80000000, v60
	v_cmp_class_f64_e64 s[4:5], v[104:105], s95
	v_mul_f64 v[120:121], v[120:121], v[120:121]
	v_xor_b32_e32 v44, v44, v46
	v_mul_f64 v[120:121], v[120:121], v[120:121]
	v_cndmask_b32_e64 v47, v56, v44, s[4:5]
	v_xor_b32_e32 v44, v60, v105
	v_mul_f64 v[120:121], v[120:121], v[120:121]
	v_cndmask_b32_e32 v43, v49, v43, vcc
	v_and_b32_e32 v44, 0x80000000, v44
	v_mul_f64 v[120:121], v[120:121], v[120:121]
	v_cndmask_b32_e32 v45, v42, v48, vcc
	v_cndmask_b32_e32 v42, v48, v42, vcc
	v_xor_b32_e32 v43, v43, v44
	v_mul_f64 v[120:121], v[120:121], v[120:121]
	v_cndmask_b32_e64 v46, 0, v45, s[4:5]
	v_cndmask_b32_e64 v44, 0, v42, s[4:5]
	;; [unrolled: 1-line block ×3, first 2 shown]
	v_mul_f64 v[42:43], v[44:45], 0
	v_mul_f64 v[44:45], v[120:121], v[44:45]
	v_add_f64 v[124:125], -v[16:17], 0
	v_fma_f64 v[42:43], v[120:121], v[46:47], -v[42:43]
	v_fmac_f64_e32 v[44:45], 0, v[46:47]
	v_pk_mov_b32 v[92:93], 0, 0
	v_mul_f64 v[114:115], v[98:99], s[38:39]
	s_mov_b64 s[92:93], 0
	v_mul_f64 v[116:117], v[98:99], 0
	v_mul_f64 v[16:17], v[124:125], v[124:125]
	;; [unrolled: 1-line block ×4, first 2 shown]
	v_pk_mov_b32 v[86:87], v[92:93], v[92:93] op_sel:[0,1]
.LBB0_120:                              ;   Parent Loop BB0_34 Depth=1
                                        ;     Parent Loop BB0_108 Depth=2
                                        ; =>    This Inner Loop Header: Depth=3
	s_getpc_b64 s[6:7]
	s_add_u32 s6, s6, __const._Z14fast_nuclear_W9RSComplex.neg_1n@rel32@lo+4
	s_addc_u32 s7, s7, __const._Z14fast_nuclear_W9RSComplex.neg_1n@rel32@hi+12
	s_add_u32 s6, s92, s6
	s_addc_u32 s7, s93, s7
	s_load_dwordx4 s[8:11], s[6:7], 0x0
	s_getpc_b64 s[6:7]
	s_add_u32 s6, s6, __const._Z14fast_nuclear_W9RSComplex.denominator_left@rel32@lo+4
	s_addc_u32 s7, s7, __const._Z14fast_nuclear_W9RSComplex.denominator_left@rel32@hi+12
	s_add_u32 s6, s92, s6
	s_addc_u32 s7, s93, s7
	s_load_dwordx4 s[20:23], s[6:7], 0x0
	s_waitcnt lgkmcnt(0)
	v_fma_f64 v[60:61], v[42:43], s[8:9], -v[46:47]
	v_add_f64 v[60:61], v[60:61], -1.0
	s_getpc_b64 s[6:7]
	s_add_u32 s6, s6, __const._Z14fast_nuclear_W9RSComplex.an@rel32@lo+4
	s_addc_u32 s7, s7, __const._Z14fast_nuclear_W9RSComplex.an@rel32@hi+12
	v_fma_f64 v[64:65], s[8:9], v[44:45], v[48:49]
	v_add_f64 v[66:67], s[20:21], -v[122:123]
	s_add_u32 s6, s92, s6
	v_mul_f64 v[72:73], v[66:67], v[60:61]
	s_addc_u32 s7, s93, s7
	v_fma_f64 v[70:71], v[66:67], v[66:67], v[16:17]
	v_fmac_f64_e32 v[72:73], v[124:125], v[64:65]
	s_load_dwordx4 s[16:19], s[6:7], 0x0
	v_div_scale_f64 v[74:75], s[6:7], v[70:71], v[70:71], v[72:73]
	v_rcp_f64_e32 v[76:77], v[74:75]
	v_mul_f64 v[60:61], v[124:125], v[60:61]
	v_fma_f64 v[60:61], v[66:67], v[64:65], -v[60:61]
	v_div_scale_f64 v[64:65], s[6:7], v[70:71], v[70:71], v[60:61]
	v_fma_f64 v[112:113], -v[74:75], v[76:77], 1.0
	v_fmac_f64_e32 v[76:77], v[76:77], v[112:113]
	v_fma_f64 v[112:113], -v[74:75], v[76:77], 1.0
	v_fmac_f64_e32 v[76:77], v[76:77], v[112:113]
	v_div_scale_f64 v[112:113], vcc, v[72:73], v[70:71], v[72:73]
	v_rcp_f64_e32 v[66:67], v[64:65]
	v_mul_f64 v[80:81], v[112:113], v[76:77]
	v_fma_f64 v[74:75], -v[74:75], v[80:81], v[112:113]
	s_nop 0
	v_div_fmas_f64 v[74:75], v[74:75], v[76:77], v[80:81]
	v_div_fixup_f64 v[72:73], v[74:75], v[70:71], v[72:73]
	v_fma_f64 v[74:75], -v[64:65], v[66:67], 1.0
	v_fmac_f64_e32 v[66:67], v[66:67], v[74:75]
	v_fma_f64 v[74:75], -v[64:65], v[66:67], 1.0
	v_fmac_f64_e32 v[66:67], v[66:67], v[74:75]
	v_div_scale_f64 v[74:75], vcc, v[60:61], v[70:71], v[60:61]
	v_mul_f64 v[76:77], v[74:75], v[66:67]
	v_fma_f64 v[64:65], -v[64:65], v[76:77], v[74:75]
	s_add_u32 s92, s92, 16
	s_nop 0
	v_div_fmas_f64 v[64:65], v[64:65], v[66:67], v[76:77]
	v_div_fixup_f64 v[60:61], v[64:65], v[70:71], v[60:61]
	v_mul_f64 v[64:65], v[60:61], 0
	s_waitcnt lgkmcnt(0)
	v_mul_f64 v[60:61], s[16:17], v[60:61]
	v_fma_f64 v[66:67], v[42:43], s[10:11], -v[46:47]
	v_fma_f64 v[64:65], s[16:17], v[72:73], -v[64:65]
	v_fmac_f64_e32 v[60:61], 0, v[72:73]
	v_add_f64 v[66:67], v[66:67], -1.0
	v_add_f64 v[72:73], s[22:23], -v[122:123]
	v_fma_f64 v[70:71], s[10:11], v[44:45], v[48:49]
	v_mul_f64 v[76:77], v[72:73], v[66:67]
	v_fma_f64 v[74:75], v[72:73], v[72:73], v[16:17]
	v_fmac_f64_e32 v[76:77], v[124:125], v[70:71]
	v_div_scale_f64 v[80:81], s[6:7], v[74:75], v[74:75], v[76:77]
	v_add_f64 v[60:61], v[86:87], v[60:61]
	v_rcp_f64_e32 v[86:87], v[80:81]
	v_add_f64 v[64:65], v[92:93], v[64:65]
	v_mul_f64 v[66:67], v[124:125], v[66:67]
	v_fma_f64 v[66:67], v[72:73], v[70:71], -v[66:67]
	v_fma_f64 v[92:93], -v[80:81], v[86:87], 1.0
	v_fmac_f64_e32 v[86:87], v[86:87], v[92:93]
	v_fma_f64 v[92:93], -v[80:81], v[86:87], 1.0
	v_div_scale_f64 v[70:71], s[6:7], v[74:75], v[74:75], v[66:67]
	v_fmac_f64_e32 v[86:87], v[86:87], v[92:93]
	v_div_scale_f64 v[92:93], vcc, v[76:77], v[74:75], v[76:77]
	v_rcp_f64_e32 v[72:73], v[70:71]
	v_mul_f64 v[112:113], v[92:93], v[86:87]
	v_fma_f64 v[80:81], -v[80:81], v[112:113], v[92:93]
	s_nop 0
	v_div_fmas_f64 v[80:81], v[80:81], v[86:87], v[112:113]
	v_div_fixup_f64 v[76:77], v[80:81], v[74:75], v[76:77]
	v_fma_f64 v[80:81], -v[70:71], v[72:73], 1.0
	v_fmac_f64_e32 v[72:73], v[72:73], v[80:81]
	v_fma_f64 v[80:81], -v[70:71], v[72:73], 1.0
	v_fmac_f64_e32 v[72:73], v[72:73], v[80:81]
	v_div_scale_f64 v[80:81], vcc, v[66:67], v[74:75], v[66:67]
	v_mul_f64 v[86:87], v[80:81], v[72:73]
	v_fma_f64 v[70:71], -v[70:71], v[86:87], v[80:81]
	s_addc_u32 s93, s93, 0
	s_nop 0
	v_div_fmas_f64 v[70:71], v[70:71], v[72:73], v[86:87]
	v_div_fixup_f64 v[66:67], v[70:71], v[74:75], v[66:67]
	v_mul_f64 v[70:71], v[66:67], 0
	v_mul_f64 v[66:67], s[18:19], v[66:67]
	v_fma_f64 v[70:71], s[18:19], v[76:77], -v[70:71]
	v_fmac_f64_e32 v[66:67], 0, v[76:77]
	v_add_f64 v[92:93], v[64:65], v[70:71]
	v_add_f64 v[86:87], v[60:61], v[66:67]
	s_cmpk_eq_i32 s92, 0x50
	s_cbranch_scc0 .LBB0_120
; %bb.121:                              ;   in Loop: Header=BB0_108 Depth=2
	v_and_b32_e32 v16, 1, v59
	v_cmp_eq_u32_e32 vcc, 0, v16
	v_mul_f64 v[16:17], v[106:107], v[106:107]
	v_pk_mov_b32 v[48:49], s[68:69], s[68:69] op_sel:[0,1]
	v_mul_f64 v[42:43], v[16:17], 0.5
	v_fma_f64 v[60:61], s[70:71], v[16:17], v[48:49]
	v_add_f64 v[44:45], -v[42:43], 1.0
	v_fma_f64 v[60:61], v[16:17], v[60:61], s[72:73]
	v_fma_f64 v[60:61], v[16:17], v[60:61], s[74:75]
	v_add_f64 v[64:65], -v[44:45], 1.0
	v_fma_f64 v[60:61], v[16:17], v[60:61], s[76:77]
	s_mov_b32 s78, s80
	v_add_f64 v[42:43], v[64:65], -v[42:43]
	v_mul_f64 v[46:47], v[16:17], v[16:17]
	v_fma_f64 v[60:61], v[16:17], v[60:61], s[78:79]
	v_fma_f64 v[42:43], v[106:107], -v[108:109], v[42:43]
	v_fmac_f64_e32 v[42:43], v[46:47], v[60:61]
	v_pk_mov_b32 v[46:47], s[82:83], s[82:83] op_sel:[0,1]
	v_fma_f64 v[60:61], s[84:85], v[16:17], v[46:47]
	v_fma_f64 v[60:61], v[16:17], v[60:61], s[86:87]
	;; [unrolled: 1-line block ×3, first 2 shown]
	v_add_f64 v[42:43], v[44:45], v[42:43]
	v_mul_f64 v[44:45], v[106:107], -v[16:17]
	v_fma_f64 v[60:61], v[16:17], v[60:61], s[90:91]
	v_mul_f64 v[64:65], v[108:109], 0.5
	v_fmac_f64_e32 v[64:65], v[44:45], v[60:61]
	v_fma_f64 v[16:17], v[16:17], v[64:65], -v[108:109]
	v_fmac_f64_e32 v[16:17], s[80:81], v[44:45]
	v_add_f64 v[16:17], v[106:107], -v[16:17]
	v_xor_b32_e32 v17, 0x80000000, v17
	v_cndmask_b32_e32 v16, v16, v42, vcc
	v_lshlrev_b32_e32 v42, 30, v59
	v_cndmask_b32_e32 v17, v17, v43, vcc
	v_and_b32_e32 v42, 0x80000000, v42
	v_xor_b32_e32 v17, v17, v42
	v_mul_f64 v[42:43], v[110:111], v[110:111]
	v_mul_f64 v[44:45], v[42:43], 0.5
	v_fmac_f64_e32 v[48:49], s[70:71], v[42:43]
	v_add_f64 v[60:61], -v[44:45], 1.0
	v_fma_f64 v[48:49], v[42:43], v[48:49], s[72:73]
	v_add_f64 v[64:65], -v[60:61], 1.0
	v_fma_f64 v[48:49], v[42:43], v[48:49], s[74:75]
	v_add_f64 v[44:45], v[64:65], -v[44:45]
	v_fma_f64 v[48:49], v[42:43], v[48:49], s[76:77]
	v_fmac_f64_e32 v[46:47], s[84:85], v[42:43]
	v_mul_f64 v[64:65], v[42:43], v[42:43]
	v_fma_f64 v[48:49], v[42:43], v[48:49], s[78:79]
	v_fma_f64 v[44:45], v[110:111], -v[50:51], v[44:45]
	v_fma_f64 v[46:47], v[42:43], v[46:47], s[86:87]
	v_fmac_f64_e32 v[44:45], v[64:65], v[48:49]
	v_fma_f64 v[46:47], v[42:43], v[46:47], s[88:89]
	v_add_f64 v[44:45], v[60:61], v[44:45]
	v_fma_f64 v[46:47], v[42:43], v[46:47], s[90:91]
	v_mul_f64 v[48:49], v[110:111], -v[42:43]
	v_mul_f64 v[60:61], v[50:51], 0.5
	v_fmac_f64_e32 v[60:61], v[48:49], v[46:47]
	v_fma_f64 v[42:43], v[42:43], v[60:61], -v[50:51]
	v_fmac_f64_e32 v[42:43], s[80:81], v[48:49]
	v_and_b32_e32 v46, 1, v62
	v_add_f64 v[42:43], v[110:111], -v[42:43]
	v_cmp_eq_u32_e32 vcc, 0, v46
	v_cndmask_b32_e32 v42, v44, v42, vcc
	v_lshlrev_b32_e32 v44, 30, v62
	v_xor_b32_e32 v44, v44, v105
	v_cndmask_b32_e32 v43, v45, v43, vcc
	v_and_b32_e32 v44, 0x80000000, v44
	v_xor_b32_e32 v43, v43, v44
	v_cndmask_b32_e64 v16, 0, v16, s[4:5]
	v_cndmask_b32_e64 v17, v56, v17, s[4:5]
	;; [unrolled: 1-line block ×4, first 2 shown]
	v_mul_f64 v[44:45], v[120:121], v[16:17]
	v_mul_f64 v[46:47], v[120:121], v[42:43]
	v_fmac_f64_e32 v[46:47], 0, v[16:17]
	v_fma_f64 v[16:17], v[42:43], 0, -v[44:45]
	v_add_f64 v[16:17], v[16:17], 1.0
	v_add_f64 v[42:43], -v[46:47], 0
	v_fma_f64 v[44:45], 0, v[42:43], v[16:17]
	v_add_f64 v[46:47], v[116:117], v[118:119]
	v_mul_f64 v[48:49], v[46:47], v[44:45]
	v_fma_f64 v[16:17], v[16:17], 0, -v[42:43]
	v_add_f64 v[42:43], v[114:115], -v[102:103]
	v_fmac_f64_e32 v[48:49], v[42:43], v[16:17]
	v_mul_f64 v[16:17], v[46:47], v[16:17]
	v_mul_f64 v[46:47], v[46:47], v[46:47]
	v_fmac_f64_e32 v[46:47], v[42:43], v[42:43]
	v_fma_f64 v[16:17], v[42:43], v[44:45], -v[16:17]
	v_div_scale_f64 v[42:43], s[4:5], v[46:47], v[46:47], v[48:49]
	v_rcp_f64_e32 v[44:45], v[42:43]
	v_fma_f64 v[50:51], -v[42:43], v[44:45], 1.0
	v_fmac_f64_e32 v[44:45], v[44:45], v[50:51]
	v_fma_f64 v[50:51], -v[42:43], v[44:45], 1.0
	v_fmac_f64_e32 v[44:45], v[44:45], v[50:51]
	v_div_scale_f64 v[50:51], vcc, v[48:49], v[46:47], v[48:49]
	v_mul_f64 v[60:61], v[50:51], v[44:45]
	v_fma_f64 v[42:43], -v[42:43], v[60:61], v[50:51]
	s_nop 1
	v_div_fmas_f64 v[42:43], v[42:43], v[44:45], v[60:61]
	v_div_scale_f64 v[44:45], s[4:5], v[46:47], v[46:47], v[16:17]
	v_div_fixup_f64 v[42:43], v[42:43], v[46:47], v[48:49]
	v_rcp_f64_e32 v[48:49], v[44:45]
	v_fma_f64 v[50:51], -v[44:45], v[48:49], 1.0
	v_fmac_f64_e32 v[48:49], v[48:49], v[50:51]
	v_fma_f64 v[50:51], -v[44:45], v[48:49], 1.0
	v_fmac_f64_e32 v[48:49], v[48:49], v[50:51]
	v_div_scale_f64 v[50:51], vcc, v[16:17], v[46:47], v[16:17]
	v_mul_f64 v[60:61], v[50:51], v[48:49]
	v_fma_f64 v[44:45], -v[44:45], v[60:61], v[50:51]
	s_nop 1
	v_div_fmas_f64 v[44:45], v[44:45], v[48:49], v[60:61]
	v_div_fixup_f64 v[16:17], v[44:45], v[46:47], v[16:17]
	v_mul_f64 v[46:47], v[100:101], v[92:93]
	v_mul_f64 v[44:45], v[100:101], v[86:87]
	v_fmac_f64_e32 v[46:47], v[98:99], v[86:87]
	v_fma_f64 v[44:45], v[98:99], v[92:93], -v[44:45]
	v_mul_f64 v[48:49], v[46:47], s[34:35]
	v_mul_f64 v[50:51], v[46:47], 0
	v_fma_f64 v[48:49], v[44:45], 0, -v[48:49]
	v_fmac_f64_e32 v[50:51], s[34:35], v[44:45]
	v_add_f64 v[46:47], v[42:43], v[48:49]
	v_add_f64 v[44:45], v[16:17], v[50:51]
	s_branch .LBB0_107
.LBB0_122:
	s_or_b64 exec, exec, s[44:45]
	v_readlane_b32 s34, v127, 18
	v_readlane_b32 s35, v127, 19
.LBB0_123:
	v_readlane_b32 s4, v127, 16
	v_readlane_b32 s5, v127, 17
	s_or_b64 exec, exec, s[4:5]
	s_mov_b32 s4, -1
	v_max_f64 v[0:1], v[88:89], v[88:89]
	s_mov_b32 s5, 0xffefffff
	v_max_f64 v[0:1], v[0:1], s[4:5]
	v_cmp_gt_f64_e32 vcc, v[84:85], v[0:1]
	v_cndmask_b32_e32 v1, v1, v85, vcc
	v_cndmask_b32_e32 v0, v0, v84, vcc
	v_cmp_gt_f64_e64 s[4:5], v[78:79], v[0:1]
	v_cndmask_b32_e64 v1, v1, v79, s[4:5]
	v_cndmask_b32_e64 v0, v0, v78, s[4:5]
	v_cndmask_b32_e64 v2, 1, 2, vcc
	v_cndmask_b32_e64 v2, v2, 3, s[4:5]
	v_cmp_ngt_f64_e32 vcc, v[68:69], v[0:1]
	v_cndmask_b32_e32 v0, 4, v2, vcc
	buffer_load_dword v2, off, s[0:3], 0 offset:244 ; 4-byte Folded Reload
	buffer_load_dword v3, off, s[0:3], 0 offset:248 ; 4-byte Folded Reload
	v_mov_b32_e32 v4, s35
	v_mov_b32_e32 v1, 0
	s_waitcnt vmcnt(0)
	v_ashrrev_i32_e32 v3, 31, v2
	v_lshlrev_b64 v[2:3], 3, v[2:3]
	v_add_co_u32_e32 v2, vcc, s34, v2
	v_addc_co_u32_e32 v3, vcc, v4, v3, vcc
	global_store_dwordx2 v[2:3], v[0:1], off
.LBB0_124:
	s_endpgm
	.section	.rodata,"a",@progbits
	.p2align	6, 0x0
	.amdhsa_kernel _Z25xs_lookup_kernel_baseline5Input14SimulationData
		.amdhsa_group_segment_fixed_size 0
		.amdhsa_private_segment_fixed_size 256
		.amdhsa_kernarg_size 496
		.amdhsa_user_sgpr_count 8
		.amdhsa_user_sgpr_private_segment_buffer 1
		.amdhsa_user_sgpr_dispatch_ptr 0
		.amdhsa_user_sgpr_queue_ptr 0
		.amdhsa_user_sgpr_kernarg_segment_ptr 1
		.amdhsa_user_sgpr_dispatch_id 0
		.amdhsa_user_sgpr_flat_scratch_init 1
		.amdhsa_user_sgpr_kernarg_preload_length 0
		.amdhsa_user_sgpr_kernarg_preload_offset 0
		.amdhsa_user_sgpr_private_segment_size 0
		.amdhsa_uses_dynamic_stack 0
		.amdhsa_system_sgpr_private_segment_wavefront_offset 1
		.amdhsa_system_sgpr_workgroup_id_x 1
		.amdhsa_system_sgpr_workgroup_id_y 0
		.amdhsa_system_sgpr_workgroup_id_z 0
		.amdhsa_system_sgpr_workgroup_info 0
		.amdhsa_system_vgpr_workitem_id 0
		.amdhsa_next_free_vgpr 128
		.amdhsa_next_free_sgpr 100
		.amdhsa_accum_offset 128
		.amdhsa_reserve_vcc 1
		.amdhsa_reserve_flat_scratch 0
		.amdhsa_float_round_mode_32 0
		.amdhsa_float_round_mode_16_64 0
		.amdhsa_float_denorm_mode_32 3
		.amdhsa_float_denorm_mode_16_64 3
		.amdhsa_dx10_clamp 1
		.amdhsa_ieee_mode 1
		.amdhsa_fp16_overflow 0
		.amdhsa_tg_split 0
		.amdhsa_exception_fp_ieee_invalid_op 0
		.amdhsa_exception_fp_denorm_src 0
		.amdhsa_exception_fp_ieee_div_zero 0
		.amdhsa_exception_fp_ieee_overflow 0
		.amdhsa_exception_fp_ieee_underflow 0
		.amdhsa_exception_fp_ieee_inexact 0
		.amdhsa_exception_int_div_zero 0
	.end_amdhsa_kernel
	.text
.Lfunc_end0:
	.size	_Z25xs_lookup_kernel_baseline5Input14SimulationData, .Lfunc_end0-_Z25xs_lookup_kernel_baseline5Input14SimulationData
                                        ; -- End function
	.section	.AMDGPU.csdata,"",@progbits
; Kernel info:
; codeLenInByte = 30484
; NumSgprs: 104
; NumVgprs: 128
; NumAgprs: 0
; TotalNumVgprs: 128
; ScratchSize: 256
; MemoryBound: 1
; FloatMode: 240
; IeeeMode: 1
; LDSByteSize: 0 bytes/workgroup (compile time only)
; SGPRBlocks: 12
; VGPRBlocks: 15
; NumSGPRsForWavesPerEU: 104
; NumVGPRsForWavesPerEU: 128
; AccumOffset: 128
; Occupancy: 4
; WaveLimiterHint : 1
; COMPUTE_PGM_RSRC2:SCRATCH_EN: 1
; COMPUTE_PGM_RSRC2:USER_SGPR: 8
; COMPUTE_PGM_RSRC2:TRAP_HANDLER: 0
; COMPUTE_PGM_RSRC2:TGID_X_EN: 1
; COMPUTE_PGM_RSRC2:TGID_Y_EN: 0
; COMPUTE_PGM_RSRC2:TGID_Z_EN: 0
; COMPUTE_PGM_RSRC2:TIDIG_COMP_CNT: 0
; COMPUTE_PGM_RSRC3_GFX90A:ACCUM_OFFSET: 31
; COMPUTE_PGM_RSRC3_GFX90A:TG_SPLIT: 0
	.text
	.p2alignl 6, 3212836864
	.fill 256, 4, 3212836864
	.type	__const._Z14fast_nuclear_W9RSComplex.an,@object ; @__const._Z14fast_nuclear_W9RSComplex.an
	.section	.rodata,"a",@progbits
	.p2align	4, 0x0
__const._Z14fast_nuclear_W9RSComplex.an:
	.quad	0x3fd1a75da77b03ac              ; double 0.27584019999999998
	.quad	0x3fccbed740c4156e              ; double 0.224574
	;; [unrolled: 1-line block ×9, first 2 shown]
	.quad	0x3f346e6a1e8a624d              ; double 3.1175700000000002E-4
	.size	__const._Z14fast_nuclear_W9RSComplex.an, 80

	.type	__const._Z14fast_nuclear_W9RSComplex.neg_1n,@object ; @__const._Z14fast_nuclear_W9RSComplex.neg_1n
	.p2align	4, 0x0
__const._Z14fast_nuclear_W9RSComplex.neg_1n:
	.quad	0xbff0000000000000              ; double -1
	.quad	0x3ff0000000000000              ; double 1
	.quad	0xbff0000000000000              ; double -1
	.quad	0x3ff0000000000000              ; double 1
	;; [unrolled: 2-line block ×5, first 2 shown]
	.size	__const._Z14fast_nuclear_W9RSComplex.neg_1n, 80

	.type	__const._Z14fast_nuclear_W9RSComplex.denominator_left,@object ; @__const._Z14fast_nuclear_W9RSComplex.denominator_left
	.p2align	4, 0x0
__const._Z14fast_nuclear_W9RSComplex.denominator_left:
	.quad	0x4023bd3cbc48f10b              ; double 9.8696040000000007
	.quad	0x4043bd3cddd6e04c              ; double 39.47842
	;; [unrolled: 1-line block ×10, first 2 shown]
	.size	__const._Z14fast_nuclear_W9RSComplex.denominator_left, 80

	.type	__hip_cuid_dcd08cb496c4f5e3,@object ; @__hip_cuid_dcd08cb496c4f5e3
	.section	.bss,"aw",@nobits
	.globl	__hip_cuid_dcd08cb496c4f5e3
__hip_cuid_dcd08cb496c4f5e3:
	.byte	0                               ; 0x0
	.size	__hip_cuid_dcd08cb496c4f5e3, 1

	.ident	"AMD clang version 19.0.0git (https://github.com/RadeonOpenCompute/llvm-project roc-6.4.0 25133 c7fe45cf4b819c5991fe208aaa96edf142730f1d)"
	.section	".note.GNU-stack","",@progbits
	.addrsig
	.addrsig_sym __hip_cuid_dcd08cb496c4f5e3
	.amdgpu_metadata
---
amdhsa.kernels:
  - .agpr_count:     0
    .args:
      - .offset:         0
        .size:           44
        .value_kind:     by_value
      - .offset:         48
        .size:           192
        .value_kind:     by_value
      - .offset:         240
        .size:           4
        .value_kind:     hidden_block_count_x
      - .offset:         244
        .size:           4
        .value_kind:     hidden_block_count_y
      - .offset:         248
        .size:           4
        .value_kind:     hidden_block_count_z
      - .offset:         252
        .size:           2
        .value_kind:     hidden_group_size_x
      - .offset:         254
        .size:           2
        .value_kind:     hidden_group_size_y
      - .offset:         256
        .size:           2
        .value_kind:     hidden_group_size_z
      - .offset:         258
        .size:           2
        .value_kind:     hidden_remainder_x
      - .offset:         260
        .size:           2
        .value_kind:     hidden_remainder_y
      - .offset:         262
        .size:           2
        .value_kind:     hidden_remainder_z
      - .offset:         280
        .size:           8
        .value_kind:     hidden_global_offset_x
      - .offset:         288
        .size:           8
        .value_kind:     hidden_global_offset_y
      - .offset:         296
        .size:           8
        .value_kind:     hidden_global_offset_z
      - .offset:         304
        .size:           2
        .value_kind:     hidden_grid_dims
    .group_segment_fixed_size: 0
    .kernarg_segment_align: 8
    .kernarg_segment_size: 496
    .language:       OpenCL C
    .language_version:
      - 2
      - 0
    .max_flat_workgroup_size: 1024
    .name:           _Z25xs_lookup_kernel_baseline5Input14SimulationData
    .private_segment_fixed_size: 256
    .sgpr_count:     104
    .sgpr_spill_count: 22
    .symbol:         _Z25xs_lookup_kernel_baseline5Input14SimulationData.kd
    .uniform_work_group_size: 1
    .uses_dynamic_stack: false
    .vgpr_count:     128
    .vgpr_spill_count: 47
    .wavefront_size: 64
amdhsa.target:   amdgcn-amd-amdhsa--gfx90a
amdhsa.version:
  - 1
  - 2
...

	.end_amdgpu_metadata
